;; amdgpu-corpus repo=ROCm/rocFFT kind=compiled arch=gfx1030 opt=O3
	.text
	.amdgcn_target "amdgcn-amd-amdhsa--gfx1030"
	.amdhsa_code_object_version 6
	.protected	fft_rtc_back_len3840_factors_10_6_2_2_2_2_2_2_wgs_128_tpt_128_halfLds_dp_op_CI_CI_sbrr_dirReg ; -- Begin function fft_rtc_back_len3840_factors_10_6_2_2_2_2_2_2_wgs_128_tpt_128_halfLds_dp_op_CI_CI_sbrr_dirReg
	.globl	fft_rtc_back_len3840_factors_10_6_2_2_2_2_2_2_wgs_128_tpt_128_halfLds_dp_op_CI_CI_sbrr_dirReg
	.p2align	8
	.type	fft_rtc_back_len3840_factors_10_6_2_2_2_2_2_2_wgs_128_tpt_128_halfLds_dp_op_CI_CI_sbrr_dirReg,@function
fft_rtc_back_len3840_factors_10_6_2_2_2_2_2_2_wgs_128_tpt_128_halfLds_dp_op_CI_CI_sbrr_dirReg: ; @fft_rtc_back_len3840_factors_10_6_2_2_2_2_2_2_wgs_128_tpt_128_halfLds_dp_op_CI_CI_sbrr_dirReg
; %bb.0:
	s_clause 0x2
	s_load_dwordx4 s[16:19], s[4:5], 0x18
	s_load_dwordx4 s[12:15], s[4:5], 0x0
	;; [unrolled: 1-line block ×3, first 2 shown]
	v_mov_b32_e32 v4, 0
	v_mov_b32_e32 v2, 0
	v_mov_b32_e32 v6, s6
	v_mov_b32_e32 v3, 0
	s_waitcnt lgkmcnt(0)
	s_load_dwordx2 s[20:21], s[16:17], 0x0
	s_load_dwordx2 s[2:3], s[18:19], 0x0
	v_cmp_lt_u64_e64 s0, s[14:15], 2
	v_mov_b32_e32 v7, v4
	s_and_b32 vcc_lo, exec_lo, s0
	s_cbranch_vccnz .LBB0_8
; %bb.1:
	s_load_dwordx2 s[0:1], s[4:5], 0x10
	v_mov_b32_e32 v2, 0
	v_mov_b32_e32 v3, 0
	s_add_u32 s6, s18, 8
	s_addc_u32 s7, s19, 0
	s_add_u32 s22, s16, 8
	s_addc_u32 s23, s17, 0
	v_mov_b32_e32 v123, v3
	v_mov_b32_e32 v122, v2
	s_mov_b64 s[26:27], 1
	s_waitcnt lgkmcnt(0)
	s_add_u32 s24, s0, 8
	s_addc_u32 s25, s1, 0
.LBB0_2:                                ; =>This Inner Loop Header: Depth=1
	s_load_dwordx2 s[28:29], s[24:25], 0x0
                                        ; implicit-def: $vgpr124_vgpr125
	s_mov_b32 s0, exec_lo
	s_waitcnt lgkmcnt(0)
	v_or_b32_e32 v5, s29, v7
	v_cmpx_ne_u64_e32 0, v[4:5]
	s_xor_b32 s1, exec_lo, s0
	s_cbranch_execz .LBB0_4
; %bb.3:                                ;   in Loop: Header=BB0_2 Depth=1
	v_cvt_f32_u32_e32 v1, s28
	v_cvt_f32_u32_e32 v5, s29
	s_sub_u32 s0, 0, s28
	s_subb_u32 s30, 0, s29
	v_fmac_f32_e32 v1, 0x4f800000, v5
	v_rcp_f32_e32 v1, v1
	v_mul_f32_e32 v1, 0x5f7ffffc, v1
	v_mul_f32_e32 v5, 0x2f800000, v1
	v_trunc_f32_e32 v5, v5
	v_fmac_f32_e32 v1, 0xcf800000, v5
	v_cvt_u32_f32_e32 v5, v5
	v_cvt_u32_f32_e32 v1, v1
	v_mul_lo_u32 v8, s0, v5
	v_mul_hi_u32 v9, s0, v1
	v_mul_lo_u32 v10, s30, v1
	v_add_nc_u32_e32 v8, v9, v8
	v_mul_lo_u32 v9, s0, v1
	v_add_nc_u32_e32 v8, v8, v10
	v_mul_hi_u32 v10, v1, v9
	v_mul_lo_u32 v11, v1, v8
	v_mul_hi_u32 v12, v1, v8
	v_mul_hi_u32 v13, v5, v9
	v_mul_lo_u32 v9, v5, v9
	v_mul_hi_u32 v14, v5, v8
	v_mul_lo_u32 v8, v5, v8
	v_add_co_u32 v10, vcc_lo, v10, v11
	v_add_co_ci_u32_e32 v11, vcc_lo, 0, v12, vcc_lo
	v_add_co_u32 v9, vcc_lo, v10, v9
	v_add_co_ci_u32_e32 v9, vcc_lo, v11, v13, vcc_lo
	v_add_co_ci_u32_e32 v10, vcc_lo, 0, v14, vcc_lo
	v_add_co_u32 v8, vcc_lo, v9, v8
	v_add_co_ci_u32_e32 v9, vcc_lo, 0, v10, vcc_lo
	v_add_co_u32 v1, vcc_lo, v1, v8
	v_add_co_ci_u32_e32 v5, vcc_lo, v5, v9, vcc_lo
	v_mul_hi_u32 v8, s0, v1
	v_mul_lo_u32 v10, s30, v1
	v_mul_lo_u32 v9, s0, v5
	v_add_nc_u32_e32 v8, v8, v9
	v_mul_lo_u32 v9, s0, v1
	v_add_nc_u32_e32 v8, v8, v10
	v_mul_hi_u32 v10, v1, v9
	v_mul_lo_u32 v11, v1, v8
	v_mul_hi_u32 v12, v1, v8
	v_mul_hi_u32 v13, v5, v9
	v_mul_lo_u32 v9, v5, v9
	v_mul_hi_u32 v14, v5, v8
	v_mul_lo_u32 v8, v5, v8
	v_add_co_u32 v10, vcc_lo, v10, v11
	v_add_co_ci_u32_e32 v11, vcc_lo, 0, v12, vcc_lo
	v_add_co_u32 v9, vcc_lo, v10, v9
	v_add_co_ci_u32_e32 v9, vcc_lo, v11, v13, vcc_lo
	v_add_co_ci_u32_e32 v10, vcc_lo, 0, v14, vcc_lo
	v_add_co_u32 v8, vcc_lo, v9, v8
	v_add_co_ci_u32_e32 v9, vcc_lo, 0, v10, vcc_lo
	v_add_co_u32 v1, vcc_lo, v1, v8
	v_add_co_ci_u32_e32 v5, vcc_lo, v5, v9, vcc_lo
	v_mul_hi_u32 v14, v6, v1
	v_mad_u64_u32 v[10:11], null, v7, v1, 0
	v_mad_u64_u32 v[8:9], null, v6, v5, 0
	v_mad_u64_u32 v[12:13], null, v7, v5, 0
	v_add_co_u32 v1, vcc_lo, v14, v8
	v_add_co_ci_u32_e32 v5, vcc_lo, 0, v9, vcc_lo
	v_add_co_u32 v1, vcc_lo, v1, v10
	v_add_co_ci_u32_e32 v1, vcc_lo, v5, v11, vcc_lo
	v_add_co_ci_u32_e32 v5, vcc_lo, 0, v13, vcc_lo
	v_add_co_u32 v1, vcc_lo, v1, v12
	v_add_co_ci_u32_e32 v5, vcc_lo, 0, v5, vcc_lo
	v_mul_lo_u32 v10, s29, v1
	v_mad_u64_u32 v[8:9], null, s28, v1, 0
	v_mul_lo_u32 v11, s28, v5
	v_sub_co_u32 v8, vcc_lo, v6, v8
	v_add3_u32 v9, v9, v11, v10
	v_sub_nc_u32_e32 v10, v7, v9
	v_subrev_co_ci_u32_e64 v10, s0, s29, v10, vcc_lo
	v_add_co_u32 v11, s0, v1, 2
	v_add_co_ci_u32_e64 v12, s0, 0, v5, s0
	v_sub_co_u32 v13, s0, v8, s28
	v_sub_co_ci_u32_e32 v9, vcc_lo, v7, v9, vcc_lo
	v_subrev_co_ci_u32_e64 v10, s0, 0, v10, s0
	v_cmp_le_u32_e32 vcc_lo, s28, v13
	v_cmp_eq_u32_e64 s0, s29, v9
	v_cndmask_b32_e64 v13, 0, -1, vcc_lo
	v_cmp_le_u32_e32 vcc_lo, s29, v10
	v_cndmask_b32_e64 v14, 0, -1, vcc_lo
	v_cmp_le_u32_e32 vcc_lo, s28, v8
	;; [unrolled: 2-line block ×3, first 2 shown]
	v_cndmask_b32_e64 v15, 0, -1, vcc_lo
	v_cmp_eq_u32_e32 vcc_lo, s29, v10
	v_cndmask_b32_e64 v8, v15, v8, s0
	v_cndmask_b32_e32 v10, v14, v13, vcc_lo
	v_add_co_u32 v13, vcc_lo, v1, 1
	v_add_co_ci_u32_e32 v14, vcc_lo, 0, v5, vcc_lo
	v_cmp_ne_u32_e32 vcc_lo, 0, v10
	v_cndmask_b32_e32 v9, v14, v12, vcc_lo
	v_cndmask_b32_e32 v10, v13, v11, vcc_lo
	v_cmp_ne_u32_e32 vcc_lo, 0, v8
	v_cndmask_b32_e32 v125, v5, v9, vcc_lo
	v_cndmask_b32_e32 v124, v1, v10, vcc_lo
.LBB0_4:                                ;   in Loop: Header=BB0_2 Depth=1
	s_andn2_saveexec_b32 s0, s1
	s_cbranch_execz .LBB0_6
; %bb.5:                                ;   in Loop: Header=BB0_2 Depth=1
	v_cvt_f32_u32_e32 v1, s28
	s_sub_i32 s1, 0, s28
	v_mov_b32_e32 v125, v4
	v_rcp_iflag_f32_e32 v1, v1
	v_mul_f32_e32 v1, 0x4f7ffffe, v1
	v_cvt_u32_f32_e32 v1, v1
	v_mul_lo_u32 v5, s1, v1
	v_mul_hi_u32 v5, v1, v5
	v_add_nc_u32_e32 v1, v1, v5
	v_mul_hi_u32 v1, v6, v1
	v_mul_lo_u32 v5, v1, s28
	v_add_nc_u32_e32 v8, 1, v1
	v_sub_nc_u32_e32 v5, v6, v5
	v_subrev_nc_u32_e32 v9, s28, v5
	v_cmp_le_u32_e32 vcc_lo, s28, v5
	v_cndmask_b32_e32 v5, v5, v9, vcc_lo
	v_cndmask_b32_e32 v1, v1, v8, vcc_lo
	v_cmp_le_u32_e32 vcc_lo, s28, v5
	v_add_nc_u32_e32 v8, 1, v1
	v_cndmask_b32_e32 v124, v1, v8, vcc_lo
.LBB0_6:                                ;   in Loop: Header=BB0_2 Depth=1
	s_or_b32 exec_lo, exec_lo, s0
	v_mul_lo_u32 v1, v125, s28
	v_mul_lo_u32 v5, v124, s29
	s_load_dwordx2 s[0:1], s[22:23], 0x0
	v_mad_u64_u32 v[8:9], null, v124, s28, 0
	s_load_dwordx2 s[28:29], s[6:7], 0x0
	s_add_u32 s26, s26, 1
	s_addc_u32 s27, s27, 0
	s_add_u32 s6, s6, 8
	s_addc_u32 s7, s7, 0
	s_add_u32 s22, s22, 8
	v_add3_u32 v1, v9, v5, v1
	v_sub_co_u32 v5, vcc_lo, v6, v8
	s_addc_u32 s23, s23, 0
	s_add_u32 s24, s24, 8
	v_sub_co_ci_u32_e32 v1, vcc_lo, v7, v1, vcc_lo
	s_addc_u32 s25, s25, 0
	s_waitcnt lgkmcnt(0)
	v_mul_lo_u32 v6, s0, v1
	v_mul_lo_u32 v7, s1, v5
	v_mad_u64_u32 v[2:3], null, s0, v5, v[2:3]
	v_mul_lo_u32 v1, s28, v1
	v_mul_lo_u32 v8, s29, v5
	v_mad_u64_u32 v[122:123], null, s28, v5, v[122:123]
	v_cmp_ge_u64_e64 s0, s[26:27], s[14:15]
	v_add3_u32 v3, v7, v3, v6
	v_add3_u32 v123, v8, v123, v1
	s_and_b32 vcc_lo, exec_lo, s0
	s_cbranch_vccnz .LBB0_9
; %bb.7:                                ;   in Loop: Header=BB0_2 Depth=1
	v_mov_b32_e32 v6, v124
	v_mov_b32_e32 v7, v125
	s_branch .LBB0_2
.LBB0_8:
	v_mov_b32_e32 v123, v3
	v_mov_b32_e32 v125, v7
	;; [unrolled: 1-line block ×4, first 2 shown]
.LBB0_9:
	s_load_dwordx2 s[0:1], s[4:5], 0x28
	s_lshl_b64 s[6:7], s[14:15], 3
	v_or_b32_e32 v126, 0x80, v0
	v_or_b32_e32 v128, 0x100, v0
	;; [unrolled: 1-line block ×14, first 2 shown]
	s_add_u32 s4, s18, s6
	s_addc_u32 s5, s19, s7
	s_waitcnt lgkmcnt(0)
	v_cmp_gt_u64_e32 vcc_lo, s[0:1], v[124:125]
	v_cmp_le_u64_e64 s0, s[0:1], v[124:125]
	s_and_saveexec_b32 s1, s0
	s_xor_b32 s0, exec_lo, s1
	s_cbranch_execz .LBB0_11
; %bb.10:
	v_mov_b32_e32 v1, 0
	v_or_b32_e32 v126, 0x80, v0
	v_or_b32_e32 v128, 0x100, v0
	v_or_b32_e32 v143, 0x280, v0
	v_or_b32_e32 v134, 0x500, v0
	v_or_b32_e32 v147, 0x180, v0
	v_or_b32_e32 v145, 0x200, v0
	v_or_b32_e32 v141, 0x300, v0
	v_or_b32_e32 v130, 0x380, v0
	v_or_b32_e32 v132, 0x400, v0
	v_or_b32_e32 v133, 0x480, v0
	v_or_b32_e32 v135, 0x580, v0
	v_or_b32_e32 v136, 0x600, v0
	v_or_b32_e32 v138, 0x680, v0
	v_or_b32_e32 v140, 0x700, v0
	v_mov_b32_e32 v127, v1
	v_mov_b32_e32 v129, v1
	;; [unrolled: 1-line block ×6, first 2 shown]
                                        ; implicit-def: $vgpr2_vgpr3
.LBB0_11:
	s_or_saveexec_b32 s1, s0
                                        ; implicit-def: $vgpr4_vgpr5
                                        ; implicit-def: $vgpr24_vgpr25
                                        ; implicit-def: $vgpr12_vgpr13
                                        ; implicit-def: $vgpr32_vgpr33
                                        ; implicit-def: $vgpr20_vgpr21
                                        ; implicit-def: $vgpr40_vgpr41
                                        ; implicit-def: $vgpr16_vgpr17
                                        ; implicit-def: $vgpr36_vgpr37
                                        ; implicit-def: $vgpr28_vgpr29
                                        ; implicit-def: $vgpr8_vgpr9
                                        ; implicit-def: $vgpr44_vgpr45
                                        ; implicit-def: $vgpr52_vgpr53
                                        ; implicit-def: $vgpr68_vgpr69
                                        ; implicit-def: $vgpr56_vgpr57
                                        ; implicit-def: $vgpr72_vgpr73
                                        ; implicit-def: $vgpr64_vgpr65
                                        ; implicit-def: $vgpr80_vgpr81
                                        ; implicit-def: $vgpr60_vgpr61
                                        ; implicit-def: $vgpr76_vgpr77
                                        ; implicit-def: $vgpr48_vgpr49
                                        ; implicit-def: $vgpr84_vgpr85
                                        ; implicit-def: $vgpr88_vgpr89
                                        ; implicit-def: $vgpr92_vgpr93
                                        ; implicit-def: $vgpr96_vgpr97
                                        ; implicit-def: $vgpr100_vgpr101
                                        ; implicit-def: $vgpr104_vgpr105
                                        ; implicit-def: $vgpr116_vgpr117
                                        ; implicit-def: $vgpr120_vgpr121
                                        ; implicit-def: $vgpr112_vgpr113
                                        ; implicit-def: $vgpr108_vgpr109
	s_xor_b32 exec_lo, exec_lo, s1
	s_cbranch_execz .LBB0_13
; %bb.12:
	s_add_u32 s6, s16, s6
	s_addc_u32 s7, s17, s7
	v_mad_u64_u32 v[4:5], null, s20, v0, 0
	s_load_dwordx2 s[6:7], s[6:7], 0x0
	v_mad_u64_u32 v[6:7], null, s20, v147, 0
	v_mad_u64_u32 v[8:9], null, s20, v141, 0
	v_lshlrev_b64 v[1:2], 4, v[2:3]
	v_mad_u64_u32 v[10:11], null, s20, v133, 0
	v_mov_b32_e32 v3, v5
	v_mov_b32_e32 v5, v7
	v_or_b32_e32 v25, 0xa80, v0
	v_mov_b32_e32 v7, v9
	v_or_b32_e32 v29, 0xd80, v0
	v_mad_u64_u32 v[14:15], null, s21, v0, v[3:4]
	v_mov_b32_e32 v9, v11
	v_mad_u64_u32 v[15:16], null, s21, v147, v[5:6]
	v_mad_u64_u32 v[27:28], null, s20, v126, 0
	s_waitcnt lgkmcnt(0)
	v_mul_lo_u32 v17, s7, v124
	v_mul_lo_u32 v18, s6, v125
	v_mad_u64_u32 v[12:13], null, s6, v124, 0
	v_mov_b32_e32 v5, v14
	v_mad_u64_u32 v[19:20], null, s21, v133, v[9:10]
	v_or_b32_e32 v20, 0x900, v0
	v_or_b32_e32 v36, 0x800, v0
	v_lshlrev_b64 v[3:4], 4, v[4:5]
	v_add3_u32 v13, v13, v18, v17
	v_mad_u64_u32 v[16:17], null, s21, v141, v[7:8]
	v_mad_u64_u32 v[17:18], null, s20, v136, 0
	v_lshlrev_b64 v[11:12], 4, v[12:13]
	v_mov_b32_e32 v7, v15
	v_mad_u64_u32 v[14:15], null, s20, v20, 0
	v_mov_b32_e32 v9, v16
	v_or_b32_e32 v16, 0x780, v0
	v_add_co_u32 v11, s0, s8, v11
	v_add_co_ci_u32_e64 v12, s0, s9, v12, s0
	v_lshlrev_b64 v[5:6], 4, v[6:7]
	v_add_co_u32 v21, s0, v11, v1
	v_add_co_ci_u32_e64 v22, s0, v12, v2, s0
	v_mov_b32_e32 v7, v18
	v_add_co_u32 v1, s0, v21, v3
	v_mad_u64_u32 v[12:13], null, s20, v16, 0
	v_add_co_ci_u32_e64 v2, s0, v22, v4, s0
	v_add_co_u32 v3, s0, v21, v5
	v_mov_b32_e32 v11, v19
	v_add_co_ci_u32_e64 v4, s0, v22, v6, s0
	v_lshlrev_b64 v[5:6], 4, v[8:9]
	v_mad_u64_u32 v[7:8], null, s21, v136, v[7:8]
	v_lshlrev_b64 v[8:9], 4, v[10:11]
	v_mov_b32_e32 v10, v13
	v_or_b32_e32 v40, 0x980, v0
	v_add_co_u32 v5, s0, v21, v5
	v_add_co_ci_u32_e64 v6, s0, v22, v6, s0
	v_mov_b32_e32 v18, v7
	v_mad_u64_u32 v[10:11], null, s21, v16, v[10:11]
	v_add_co_u32 v7, s0, v21, v8
	v_add_co_ci_u32_e64 v8, s0, v22, v9, s0
	v_lshlrev_b64 v[16:17], 4, v[17:18]
	v_mov_b32_e32 v9, v15
	v_mad_u64_u32 v[18:19], null, s20, v25, 0
	v_mov_b32_e32 v13, v10
	v_or_b32_e32 v43, 0xb00, v0
	v_mad_u64_u32 v[23:24], null, s21, v20, v[9:10]
	v_or_b32_e32 v20, 0xc00, v0
	v_lshlrev_b64 v[11:12], 4, v[12:13]
	v_mov_b32_e32 v13, v19
	v_add_co_u32 v9, s0, v21, v16
	v_add_co_ci_u32_e64 v10, s0, v22, v17, s0
	v_mov_b32_e32 v15, v23
	v_mad_u64_u32 v[23:24], null, s20, v20, 0
	v_mad_u64_u32 v[16:17], null, s21, v25, v[13:14]
	;; [unrolled: 1-line block ×3, first 2 shown]
	v_lshlrev_b64 v[13:14], 4, v[14:15]
	v_add_co_u32 v11, s0, v21, v11
	v_mov_b32_e32 v15, v24
	v_mov_b32_e32 v19, v16
	v_add_co_ci_u32_e64 v12, s0, v22, v12, s0
	v_add_co_u32 v13, s0, v21, v13
	v_mad_u64_u32 v[15:16], null, s21, v20, v[15:16]
	v_lshlrev_b64 v[17:18], 4, v[18:19]
	v_mov_b32_e32 v16, v26
	v_add_co_ci_u32_e64 v14, s0, v22, v14, s0
	v_or_b32_e32 v45, 0xc80, v0
	v_mad_u64_u32 v[38:39], null, s20, v43, 0
	v_mad_u64_u32 v[19:20], null, s21, v29, v[16:17]
	v_mov_b32_e32 v24, v15
	v_mov_b32_e32 v20, v28
	v_add_co_u32 v15, s0, v21, v17
	v_add_co_ci_u32_e64 v16, s0, v22, v18, s0
	v_lshlrev_b64 v[17:18], 4, v[23:24]
	v_mov_b32_e32 v26, v19
	v_mad_u64_u32 v[23:24], null, s20, v145, 0
	v_mad_u64_u32 v[19:20], null, s21, v126, v[20:21]
	v_lshlrev_b64 v[25:26], 4, v[25:26]
	v_mad_u64_u32 v[29:30], null, s20, v130, 0
	v_add_co_u32 v17, s0, v21, v17
	v_mov_b32_e32 v20, v24
	v_mov_b32_e32 v28, v19
	v_add_co_ci_u32_e64 v18, s0, v22, v18, s0
	v_add_co_u32 v19, s0, v21, v25
	v_mad_u64_u32 v[31:32], null, s21, v145, v[20:21]
	v_add_co_ci_u32_e64 v20, s0, v22, v26, s0
	v_lshlrev_b64 v[25:26], 4, v[27:28]
	v_mov_b32_e32 v24, v30
	v_mad_u64_u32 v[27:28], null, s20, v134, 0
	v_or_b32_e32 v47, 0xe00, v0
	v_mad_u64_u32 v[49:50], null, s20, v132, 0
	v_mad_u64_u32 v[32:33], null, s21, v130, v[24:25]
	v_mov_b32_e32 v24, v31
	v_mad_u64_u32 v[33:34], null, s21, v134, v[28:29]
	v_mad_u64_u32 v[34:35], null, s20, v36, 0
	v_lshlrev_b64 v[23:24], 4, v[23:24]
	v_mov_b32_e32 v30, v32
	v_mad_u64_u32 v[31:32], null, s20, v138, 0
	v_mov_b32_e32 v28, v33
	v_add_co_u32 v25, s0, v21, v25
	v_lshlrev_b64 v[29:30], 4, v[29:30]
	v_add_co_ci_u32_e64 v26, s0, v22, v26, s0
	v_mad_u64_u32 v[32:33], null, s21, v138, v[32:33]
	v_mov_b32_e32 v33, v35
	v_add_co_u32 v23, s0, v21, v23
	v_lshlrev_b64 v[27:28], 4, v[27:28]
	v_add_co_ci_u32_e64 v24, s0, v22, v24, s0
	v_mad_u64_u32 v[35:36], null, s21, v36, v[33:34]
	v_mad_u64_u32 v[36:37], null, s20, v40, 0
	v_add_co_u32 v29, s0, v21, v29
	v_lshlrev_b64 v[31:32], 4, v[31:32]
	v_add_co_ci_u32_e64 v30, s0, v22, v30, s0
	v_add_co_u32 v27, s0, v21, v27
	v_mov_b32_e32 v33, v37
	v_add_co_ci_u32_e64 v28, s0, v22, v28, s0
	v_add_co_u32 v31, s0, v21, v31
	v_mad_u64_u32 v[40:41], null, s21, v40, v[33:34]
	v_mad_u64_u32 v[41:42], null, s20, v45, 0
	v_lshlrev_b64 v[34:35], 4, v[34:35]
	v_mov_b32_e32 v33, v39
	v_add_co_ci_u32_e64 v32, s0, v22, v32, s0
	v_mov_b32_e32 v37, v40
	v_or_b32_e32 v57, 0xb80, v0
	v_mad_u64_u32 v[39:40], null, s21, v43, v[33:34]
	v_mov_b32_e32 v33, v42
	v_mad_u64_u32 v[43:44], null, s20, v47, 0
	v_add_co_u32 v34, s0, v21, v34
	v_lshlrev_b64 v[36:37], 4, v[36:37]
	v_lshlrev_b64 v[38:39], 4, v[38:39]
	v_add_co_ci_u32_e64 v35, s0, v22, v35, s0
	v_mad_u64_u32 v[45:46], null, s21, v45, v[33:34]
	v_mov_b32_e32 v33, v44
	v_add_co_u32 v36, s0, v21, v36
	v_add_co_ci_u32_e64 v37, s0, v22, v37, s0
	v_add_co_u32 v38, s0, v21, v38
	v_mov_b32_e32 v42, v45
	v_mad_u64_u32 v[44:45], null, s21, v47, v[33:34]
	v_mad_u64_u32 v[45:46], null, s20, v128, 0
	;; [unrolled: 1-line block ×3, first 2 shown]
	v_lshlrev_b64 v[40:41], 4, v[41:42]
	v_add_co_ci_u32_e64 v39, s0, v22, v39, s0
	v_or_b32_e32 v58, 0xd00, v0
	v_mov_b32_e32 v33, v46
	v_or_b32_e32 v59, 0xe80, v0
	v_mov_b32_e32 v42, v48
	v_add_co_u32 v40, s0, v21, v40
	v_mad_u64_u32 v[51:52], null, s21, v128, v[33:34]
	v_mad_u64_u32 v[52:53], null, s21, v143, v[42:43]
	v_mov_b32_e32 v33, v50
	v_mad_u64_u32 v[53:54], null, s20, v140, 0
	v_lshlrev_b64 v[42:43], 4, v[43:44]
	v_mov_b32_e32 v46, v51
	v_mad_u64_u32 v[50:51], null, s21, v132, v[33:34]
	v_mov_b32_e32 v48, v52
	v_mad_u64_u32 v[51:52], null, s20, v135, 0
	v_lshlrev_b64 v[44:45], 4, v[45:46]
	v_add_co_ci_u32_e64 v41, s0, v22, v41, s0
	v_lshlrev_b64 v[46:47], 4, v[47:48]
	v_mov_b32_e32 v48, v54
	v_add_co_u32 v42, s0, v21, v42
	v_mov_b32_e32 v33, v52
	v_add_co_ci_u32_e64 v43, s0, v22, v43, s0
	v_add_co_u32 v148, s0, v21, v44
	v_mad_u64_u32 v[54:55], null, s21, v135, v[33:34]
	v_mad_u64_u32 v[55:56], null, s21, v140, v[48:49]
	v_add_co_ci_u32_e64 v149, s0, v22, v45, s0
	v_lshlrev_b64 v[44:45], 4, v[49:50]
	v_or_b32_e32 v50, 0x880, v0
	v_or_b32_e32 v56, 0xa00, v0
	v_add_co_u32 v150, s0, v21, v46
	v_add_co_ci_u32_e64 v151, s0, v22, v47, s0
	v_mad_u64_u32 v[46:47], null, s20, v50, 0
	v_mad_u64_u32 v[48:49], null, s20, v56, 0
	v_mov_b32_e32 v52, v54
	v_mov_b32_e32 v54, v55
	v_add_co_u32 v152, s0, v21, v44
	v_mov_b32_e32 v33, v47
	v_add_co_ci_u32_e64 v153, s0, v22, v45, s0
	v_mov_b32_e32 v47, v49
	v_lshlrev_b64 v[44:45], 4, v[51:52]
	v_mad_u64_u32 v[49:50], null, s21, v50, v[33:34]
	v_mad_u64_u32 v[50:51], null, s20, v57, 0
	;; [unrolled: 1-line block ×3, first 2 shown]
	v_lshlrev_b64 v[52:53], 4, v[53:54]
	v_add_co_u32 v154, s0, v21, v44
	v_mov_b32_e32 v47, v49
	v_mov_b32_e32 v33, v51
	v_add_co_ci_u32_e64 v155, s0, v22, v45, s0
	v_mov_b32_e32 v49, v55
	v_mad_u64_u32 v[54:55], null, s20, v58, 0
	v_mad_u64_u32 v[44:45], null, s21, v57, v[33:34]
	;; [unrolled: 1-line block ×3, first 2 shown]
	v_add_co_u32 v156, s0, v21, v52
	v_mov_b32_e32 v33, v55
	v_add_co_ci_u32_e64 v157, s0, v22, v53, s0
	v_lshlrev_b64 v[45:46], 4, v[46:47]
	v_lshlrev_b64 v[47:48], 4, v[48:49]
	v_mad_u64_u32 v[52:53], null, s21, v58, v[33:34]
	v_mov_b32_e32 v49, v57
	v_mov_b32_e32 v51, v44
	v_add_co_u32 v158, s0, v21, v45
	v_add_co_ci_u32_e64 v159, s0, v22, v46, s0
	v_mad_u64_u32 v[57:58], null, s21, v59, v[49:50]
	v_lshlrev_b64 v[44:45], 4, v[50:51]
	v_mov_b32_e32 v55, v52
	v_add_co_u32 v160, s0, v21, v47
	v_add_co_ci_u32_e64 v161, s0, v22, v48, s0
	v_lshlrev_b64 v[46:47], 4, v[54:55]
	v_add_co_u32 v162, s0, v21, v44
	v_add_co_ci_u32_e64 v163, s0, v22, v45, s0
	v_lshlrev_b64 v[44:45], 4, v[56:57]
	v_add_co_u32 v164, s0, v21, v46
	v_add_co_ci_u32_e64 v165, s0, v22, v47, s0
	v_add_co_u32 v166, s0, v21, v44
	v_add_co_ci_u32_e64 v167, s0, v22, v45, s0
	s_clause 0x1d
	global_load_dwordx4 v[106:109], v[1:2], off
	global_load_dwordx4 v[110:113], v[3:4], off
	;; [unrolled: 1-line block ×30, first 2 shown]
	v_mov_b32_e32 v1, 0
	v_mov_b32_e32 v148, v1
	;; [unrolled: 1-line block ×7, first 2 shown]
.LBB0_13:
	s_or_b32 exec_lo, exec_lo, s1
	s_waitcnt vmcnt(22)
	v_add_f64 v[151:152], v[92:93], v[100:101]
	s_waitcnt vmcnt(20)
	v_add_f64 v[153:154], v[84:85], v[116:117]
	v_add_f64 v[167:168], v[90:91], v[98:99]
	;; [unrolled: 1-line block ×6, first 2 shown]
	v_add_f64 v[185:186], v[114:115], -v[82:83]
	v_add_f64 v[187:188], v[98:99], -v[90:91]
	;; [unrolled: 1-line block ×3, first 2 shown]
	s_mov_b32 s6, 0x134454ff
	s_mov_b32 s7, 0xbfee6f0e
	;; [unrolled: 1-line block ×4, first 2 shown]
	v_add_f64 v[155:156], v[118:119], v[106:107]
	v_add_f64 v[157:158], v[120:121], v[108:109]
	;; [unrolled: 1-line block ×4, first 2 shown]
	v_add_f64 v[149:150], v[120:121], -v[88:89]
	v_add_f64 v[175:176], v[114:115], v[110:111]
	v_add_f64 v[183:184], v[104:105], -v[96:97]
	v_add_f64 v[197:198], v[114:115], -v[98:99]
	v_fma_f64 v[151:152], v[151:152], -0.5, v[112:113]
	v_fma_f64 v[112:113], v[153:154], -0.5, v[112:113]
	;; [unrolled: 1-line block ×3, first 2 shown]
	v_add_f64 v[199:200], v[116:117], -v[100:101]
	v_add_f64 v[116:117], v[100:101], -v[116:117]
	;; [unrolled: 1-line block ×5, first 2 shown]
	v_fma_f64 v[110:111], v[169:170], -0.5, v[110:111]
	v_add_f64 v[169:170], v[92:93], -v[84:85]
	v_fma_f64 v[159:160], v[159:160], -0.5, v[106:107]
	v_fma_f64 v[106:107], v[161:162], -0.5, v[106:107]
	s_mov_b32 s16, 0x4755a5e
	s_mov_b32 s17, 0xbfe2cf23
	;; [unrolled: 1-line block ×4, first 2 shown]
	v_add_f64 v[171:172], v[118:119], -v[102:103]
	v_add_f64 v[173:174], v[102:103], -v[118:119]
	v_add_f64 v[118:119], v[118:119], -v[86:87]
	v_add_f64 v[179:180], v[120:121], -v[104:105]
	v_add_f64 v[181:182], v[104:105], -v[120:121]
	v_add_f64 v[120:121], v[102:103], -v[94:95]
	v_fma_f64 v[209:210], v[185:186], s[0:1], v[151:152]
	v_fma_f64 v[211:212], v[187:188], s[6:7], v[112:113]
	;; [unrolled: 1-line block ×5, first 2 shown]
	v_add_f64 v[153:154], v[86:87], -v[94:95]
	v_add_f64 v[189:190], v[94:95], -v[86:87]
	;; [unrolled: 1-line block ×4, first 2 shown]
	v_fma_f64 v[221:222], v[201:202], s[0:1], v[110:111]
	v_add_f64 v[161:162], v[207:208], v[199:200]
	v_add_f64 v[116:117], v[169:170], v[116:117]
	v_fma_f64 v[167:168], v[195:196], s[0:1], v[167:168]
	v_fma_f64 v[165:166], v[165:166], -0.5, v[108:109]
	v_add_f64 v[102:103], v[102:103], v[155:156]
	v_fma_f64 v[108:109], v[163:164], -0.5, v[108:109]
	v_add_f64 v[98:99], v[98:99], v[175:176]
	v_add_f64 v[155:156], v[203:204], v[197:198]
	;; [unrolled: 1-line block ×3, first 2 shown]
	v_fma_f64 v[157:158], v[149:150], s[0:1], v[159:160]
	v_add_f64 v[100:101], v[100:101], v[177:178]
	v_fma_f64 v[177:178], v[183:184], s[0:1], v[106:107]
	v_fma_f64 v[199:200], v[187:188], s[8:9], v[209:210]
	;; [unrolled: 1-line block ×8, first 2 shown]
	s_mov_b32 s14, 0x372fe950
	s_mov_b32 s15, 0x3fd3c6ef
	v_add_f64 v[191:192], v[88:89], -v[96:97]
	v_add_f64 v[193:194], v[96:97], -v[88:89]
	s_waitcnt vmcnt(12)
	v_add_f64 v[219:220], v[68:69], v[72:73]
	v_fma_f64 v[110:111], v[201:202], s[6:7], v[110:111]
	v_add_f64 v[114:115], v[205:206], v[114:115]
	v_fma_f64 v[175:176], v[195:196], s[16:17], v[221:222]
	v_fma_f64 v[167:168], v[201:202], s[8:9], v[167:168]
	v_add_f64 v[94:95], v[94:95], v[102:103]
	v_add_f64 v[90:91], v[90:91], v[98:99]
	s_waitcnt vmcnt(10)
	v_add_f64 v[207:208], v[44:45], v[80:81]
	v_fma_f64 v[157:158], v[183:184], s[8:9], v[157:158]
	v_add_f64 v[92:93], v[92:93], v[100:101]
	v_fma_f64 v[177:178], v[149:150], s[16:17], v[177:178]
	v_fma_f64 v[159:160], v[161:162], s[14:15], v[199:200]
	v_fma_f64 v[169:170], v[116:117], s[14:15], v[169:170]
	s_mov_b32 s18, 0x9b97f4a8
	v_fma_f64 v[112:113], v[116:117], s[14:15], v[112:113]
	v_fma_f64 v[116:117], v[161:162], s[14:15], v[151:152]
	v_add_f64 v[151:152], v[153:154], v[171:172]
	v_add_f64 v[153:154], v[189:190], v[173:174]
	v_fma_f64 v[161:162], v[120:121], s[6:7], v[165:166]
	v_fma_f64 v[165:166], v[120:121], s[0:1], v[165:166]
	;; [unrolled: 1-line block ×7, first 2 shown]
	s_mov_b32 s19, 0x3fe9e377
	s_mov_b32 s23, 0xbfe9e377
	s_mov_b32 s22, s18
	v_fma_f64 v[110:111], v[195:196], s[8:9], v[110:111]
	v_fma_f64 v[98:99], v[114:115], s[14:15], v[175:176]
	v_add_f64 v[173:174], v[193:194], v[181:182]
	v_add_f64 v[175:176], v[191:192], v[179:180]
	v_fma_f64 v[149:150], v[155:156], s[14:15], v[167:168]
	v_mul_f64 v[179:180], v[159:160], s[16:17]
	v_mul_f64 v[181:182], v[169:170], s[6:7]
	v_add_f64 v[96:97], v[96:97], v[104:105]
	v_add_f64 v[86:87], v[86:87], v[94:95]
	;; [unrolled: 1-line block ×3, first 2 shown]
	v_add_f64 v[167:168], v[78:79], -v[42:43]
	v_mul_f64 v[155:156], v[116:117], s[16:17]
	v_fma_f64 v[100:101], v[118:119], s[8:9], v[161:162]
	v_fma_f64 v[104:105], v[118:119], s[16:17], v[165:166]
	v_fma_f64 v[118:119], v[120:121], s[8:9], v[171:172]
	v_fma_f64 v[108:109], v[120:121], s[16:17], v[108:109]
	v_mul_f64 v[94:95], v[102:103], s[8:9]
	v_fma_f64 v[120:121], v[151:152], s[14:15], v[163:164]
	v_fma_f64 v[151:152], v[151:152], s[14:15], v[157:158]
	;; [unrolled: 1-line block ×4, first 2 shown]
	v_add_f64 v[106:107], v[66:67], v[70:71]
	v_add_f64 v[161:162], v[42:43], v[78:79]
	v_fma_f64 v[165:166], v[219:220], -0.5, v[76:77]
	v_mul_f64 v[116:117], v[116:117], s[22:23]
	v_add_f64 v[171:172], v[84:85], v[92:93]
	v_fma_f64 v[84:85], v[207:208], -0.5, v[76:77]
	v_add_f64 v[177:178], v[70:71], -v[66:67]
	v_fma_f64 v[110:111], v[114:115], s[14:15], v[110:111]
	v_mul_f64 v[114:115], v[112:113], s[6:7]
	v_mul_f64 v[90:91], v[98:99], s[0:1]
	v_fma_f64 v[102:103], v[102:103], s[18:19], v[179:180]
	v_fma_f64 v[98:99], v[98:99], s[14:15], v[181:182]
	v_add_f64 v[163:164], v[88:89], v[96:97]
	v_fma_f64 v[179:180], v[173:174], s[14:15], v[100:101]
	v_add_f64 v[100:101], v[54:55], v[62:63]
	v_fma_f64 v[118:119], v[175:176], s[14:15], v[118:119]
	v_fma_f64 v[175:176], v[175:176], s[14:15], v[108:109]
	;; [unrolled: 1-line block ×3, first 2 shown]
	v_add_f64 v[183:184], v[80:81], -v[72:73]
	v_add_f64 v[185:186], v[44:45], -v[68:69]
	v_add_f64 v[94:95], v[82:83], v[86:87]
	v_add_f64 v[88:89], v[86:87], -v[82:83]
	v_fma_f64 v[106:107], v[106:107], -0.5, v[74:75]
	v_fma_f64 v[108:109], v[161:162], -0.5, v[74:75]
	v_add_f64 v[161:162], v[80:81], -v[44:45]
	v_fma_f64 v[187:188], v[167:168], s[0:1], v[165:166]
	v_fma_f64 v[82:83], v[167:168], s[6:7], v[165:166]
	v_fma_f64 v[155:156], v[149:150], s[22:23], v[155:156]
	v_fma_f64 v[173:174], v[173:174], s[14:15], v[104:105]
	v_fma_f64 v[116:117], v[149:150], s[8:9], v[116:117]
	v_add_f64 v[104:105], v[50:51], v[58:59]
	v_add_f64 v[149:150], v[72:73], -v[68:69]
	v_add_f64 v[189:190], v[72:73], -v[80:81]
	;; [unrolled: 1-line block ×3, first 2 shown]
	v_fma_f64 v[193:194], v[177:178], s[6:7], v[84:85]
	v_fma_f64 v[84:85], v[177:178], s[0:1], v[84:85]
	s_mov_b32 s21, 0xbfd3c6ef
	s_mov_b32 s20, s14
	v_add_f64 v[213:214], v[58:59], v[46:47]
	v_mul_f64 v[112:113], v[112:113], s[20:21]
	v_fma_f64 v[114:115], v[110:111], s[20:21], v[114:115]
	v_fma_f64 v[169:170], v[169:170], s[14:15], v[90:91]
	v_add_f64 v[96:97], v[120:121], v[102:103]
	v_add_f64 v[90:91], v[120:121], -v[102:103]
	v_add_f64 v[92:93], v[157:158], -v[98:99]
	;; [unrolled: 1-line block ×3, first 2 shown]
	v_add_f64 v[74:75], v[78:79], v[74:75]
	v_add_f64 v[195:196], v[78:79], -v[70:71]
	v_add_f64 v[197:198], v[42:43], -v[66:67]
	v_fma_f64 v[100:101], v[100:101], -0.5, v[46:47]
	v_fma_f64 v[201:202], v[161:162], s[6:7], v[106:107]
	v_add_f64 v[183:184], v[185:186], v[183:184]
	v_fma_f64 v[185:186], v[177:178], s[8:9], v[187:188]
	v_add_f64 v[102:103], v[157:158], v[98:99]
	v_fma_f64 v[157:158], v[161:162], s[0:1], v[106:107]
	v_fma_f64 v[82:83], v[177:178], s[16:17], v[82:83]
	v_add_f64 v[120:121], v[64:65], -v[56:57]
	v_add_f64 v[78:79], v[70:71], -v[78:79]
	;; [unrolled: 1-line block ×3, first 2 shown]
	v_fma_f64 v[46:47], v[104:105], -0.5, v[46:47]
	v_fma_f64 v[187:188], v[149:150], s[0:1], v[108:109]
	v_add_f64 v[189:190], v[191:192], v[189:190]
	v_fma_f64 v[191:192], v[167:168], s[8:9], v[193:194]
	v_fma_f64 v[193:194], v[149:150], s[6:7], v[108:109]
	;; [unrolled: 1-line block ×4, first 2 shown]
	v_add_f64 v[112:113], v[62:63], v[213:214]
	v_add_f64 v[104:105], v[153:154], v[114:115]
	v_add_f64 v[167:168], v[58:59], -v[62:63]
	v_add_f64 v[177:178], v[62:63], -v[58:59]
	;; [unrolled: 1-line block ×4, first 2 shown]
	v_add_f64 v[76:77], v[80:81], v[76:77]
	v_add_f64 v[74:75], v[70:71], v[74:75]
	;; [unrolled: 1-line block ×3, first 2 shown]
	v_fma_f64 v[195:196], v[165:166], s[6:7], v[100:101]
	v_fma_f64 v[197:198], v[149:150], s[16:17], v[201:202]
	;; [unrolled: 1-line block ×3, first 2 shown]
	v_add_f64 v[98:99], v[153:154], -v[114:115]
	v_fma_f64 v[114:115], v[165:166], s[0:1], v[100:101]
	v_fma_f64 v[149:150], v[149:150], s[8:9], v[157:158]
	;; [unrolled: 1-line block ×3, first 2 shown]
	v_add_f64 v[215:216], v[60:61], v[48:49]
	v_fma_f64 v[201:202], v[120:121], s[0:1], v[46:47]
	v_add_f64 v[78:79], v[199:200], v[78:79]
	v_fma_f64 v[46:47], v[120:121], s[6:7], v[46:47]
	v_fma_f64 v[185:186], v[161:162], s[16:17], v[187:188]
	;; [unrolled: 1-line block ×4, first 2 shown]
	v_add_f64 v[86:87], v[151:152], v[155:156]
	v_add_f64 v[100:101], v[151:152], -v[155:156]
	v_add_f64 v[84:85], v[118:119], v[159:160]
	v_add_f64 v[70:71], v[118:119], -v[159:160]
	v_add_f64 v[112:113], v[54:55], v[112:113]
	v_add_f64 v[118:119], v[72:73], v[76:77]
	;; [unrolled: 1-line block ×4, first 2 shown]
	v_fma_f64 v[155:156], v[120:121], s[16:17], v[195:196]
	v_add_f64 v[157:158], v[205:206], v[177:178]
	v_fma_f64 v[167:168], v[80:81], s[14:15], v[197:198]
	v_mul_f64 v[177:178], v[106:107], s[16:17]
	v_fma_f64 v[114:115], v[120:121], s[8:9], v[114:115]
	v_fma_f64 v[120:121], v[80:81], s[14:15], v[149:150]
	v_mul_f64 v[149:150], v[153:154], s[16:17]
	v_add_f64 v[181:182], v[64:65], v[215:216]
	v_fma_f64 v[159:160], v[165:166], s[16:17], v[201:202]
	v_fma_f64 v[108:109], v[189:190], s[14:15], v[191:192]
	v_fma_f64 v[46:47], v[165:166], s[8:9], v[46:47]
	v_fma_f64 v[165:166], v[78:79], s[14:15], v[185:186]
	v_fma_f64 v[161:162], v[78:79], s[14:15], v[161:162]
	v_mul_f64 v[185:186], v[187:188], s[6:7]
	v_add_f64 v[82:83], v[171:172], v[163:164]
	v_add_f64 v[72:73], v[179:180], -v[169:170]
	v_add_f64 v[74:75], v[179:180], v[169:170]
	v_add_f64 v[76:77], v[173:174], v[110:111]
	v_add_f64 v[80:81], v[163:164], -v[171:172]
	v_add_f64 v[163:164], v[56:57], v[64:65]
	v_add_f64 v[171:172], v[52:53], v[60:61]
	;; [unrolled: 1-line block ×5, first 2 shown]
	s_waitcnt vmcnt(7)
	v_add_f64 v[42:43], v[34:35], v[6:7]
	v_fma_f64 v[155:156], v[151:152], s[14:15], v[155:156]
	v_fma_f64 v[177:178], v[167:168], s[18:19], v[177:178]
	v_add_f64 v[66:67], v[173:174], -v[110:111]
	v_fma_f64 v[110:111], v[151:152], s[14:15], v[114:115]
	v_fma_f64 v[114:115], v[120:121], s[22:23], v[149:150]
	v_add_f64 v[169:170], v[56:57], v[181:182]
	v_add_f64 v[181:182], v[36:37], v[8:9]
	v_fma_f64 v[159:160], v[157:158], s[14:15], v[159:160]
	v_fma_f64 v[157:158], v[157:158], s[14:15], v[46:47]
	v_mul_f64 v[183:184], v[108:109], s[6:7]
	v_fma_f64 v[185:186], v[161:162], s[20:21], v[185:186]
	v_add_f64 v[78:79], v[175:176], v[116:117]
	v_add_f64 v[68:69], v[175:176], -v[116:117]
	v_add_f64 v[62:63], v[62:63], -v[54:55]
	;; [unrolled: 1-line block ×6, first 2 shown]
	v_fma_f64 v[163:164], v[163:164], -0.5, v[48:49]
	v_fma_f64 v[171:172], v[171:172], -0.5, v[48:49]
	v_add_f64 v[175:176], v[44:45], v[118:119]
	s_waitcnt vmcnt(5)
	v_add_f64 v[118:119], v[38:39], v[42:43]
	v_add_f64 v[46:47], v[179:180], v[112:113]
	;; [unrolled: 1-line block ×3, first 2 shown]
	v_add_f64 v[42:43], v[155:156], -v[177:178]
	v_add_f64 v[56:57], v[112:113], -v[179:180]
	v_add_f64 v[112:113], v[14:15], v[26:27]
	v_add_f64 v[155:156], v[16:17], v[28:29]
	;; [unrolled: 1-line block ×3, first 2 shown]
	v_add_f64 v[60:61], v[110:111], -v[114:115]
	s_waitcnt vmcnt(2)
	v_add_f64 v[114:115], v[12:13], v[20:21]
	v_add_f64 v[181:182], v[40:41], v[181:182]
	s_waitcnt vmcnt(0)
	v_add_f64 v[177:178], v[4:5], v[16:17]
	v_add_f64 v[149:150], v[58:59], -v[50:51]
	v_add_f64 v[169:170], v[52:53], v[169:170]
	v_add_f64 v[52:53], v[157:158], v[185:186]
	v_add_f64 v[58:59], v[157:158], -v[185:186]
	v_add_f64 v[185:186], v[10:11], v[18:19]
	v_fma_f64 v[183:184], v[165:166], s[14:15], v[183:184]
	v_add_f64 v[110:111], v[30:31], v[38:39]
	v_add_f64 v[189:190], v[2:3], v[14:15]
	;; [unrolled: 1-line block ×3, first 2 shown]
	v_add_f64 v[199:200], v[14:15], -v[2:3]
	v_add_f64 v[118:119], v[30:31], v[118:119]
	v_add_f64 v[203:204], v[18:19], -v[10:11]
	v_add_f64 v[157:158], v[40:41], -v[32:33]
	;; [unrolled: 1-line block ×4, first 2 shown]
	v_add_f64 v[112:113], v[18:19], v[112:113]
	v_add_f64 v[155:156], v[20:21], v[155:156]
	v_add_f64 v[205:206], v[4:5], -v[12:13]
	v_add_f64 v[179:180], v[38:39], -v[34:35]
	v_fma_f64 v[114:115], v[114:115], -0.5, v[28:29]
	v_add_f64 v[181:182], v[32:33], v[181:182]
	v_fma_f64 v[28:29], v[177:178], -0.5, v[28:29]
	v_add_f64 v[177:178], v[16:17], -v[4:5]
	v_add_f64 v[197:198], v[22:23], -v[30:31]
	;; [unrolled: 1-line block ×3, first 2 shown]
	v_add_f64 v[64:65], v[173:174], v[64:65]
	v_fma_f64 v[185:186], v[185:186], -0.5, v[26:27]
	v_add_f64 v[44:45], v[159:160], -v[183:184]
	v_add_f64 v[50:51], v[159:160], v[183:184]
	v_add_f64 v[183:184], v[32:33], v[40:41]
	v_add_f64 v[40:41], v[40:41], -v[36:37]
	v_add_f64 v[36:37], v[24:25], v[36:37]
	v_fma_f64 v[26:27], v[189:190], -0.5, v[26:27]
	v_fma_f64 v[110:111], v[110:111], -0.5, v[6:7]
	v_fma_f64 v[6:7], v[193:194], -0.5, v[6:7]
	v_fma_f64 v[189:190], v[149:150], s[0:1], v[163:164]
	v_fma_f64 v[163:164], v[149:150], s[6:7], v[163:164]
	v_add_f64 v[112:113], v[10:11], v[112:113]
	v_add_f64 v[155:156], v[12:13], v[155:156]
	v_add_f64 v[193:194], v[16:17], -v[20:21]
	v_add_f64 v[159:160], v[34:35], -v[38:39]
	v_fma_f64 v[207:208], v[199:200], s[0:1], v[114:115]
	v_add_f64 v[38:39], v[38:39], -v[30:31]
	v_add_f64 v[34:35], v[34:35], -v[22:23]
	;; [unrolled: 1-line block ×4, first 2 shown]
	v_add_f64 v[22:23], v[22:23], v[118:119]
	v_add_f64 v[118:119], v[20:21], -v[12:13]
	v_add_f64 v[24:25], v[24:25], v[181:182]
	v_add_f64 v[181:182], v[14:15], -v[18:19]
	v_add_f64 v[16:17], v[20:21], -v[16:17]
	v_add_f64 v[20:21], v[2:3], -v[10:11]
	v_add_f64 v[12:13], v[12:13], -v[4:5]
	v_fma_f64 v[209:210], v[203:204], s[6:7], v[28:29]
	v_add_f64 v[14:15], v[18:19], -v[14:15]
	v_fma_f64 v[18:19], v[203:204], s[0:1], v[28:29]
	v_fma_f64 v[28:29], v[177:178], s[6:7], v[185:186]
	;; [unrolled: 1-line block ×3, first 2 shown]
	v_fma_f64 v[183:184], v[183:184], -0.5, v[8:9]
	v_add_f64 v[10:11], v[10:11], -v[2:3]
	v_fma_f64 v[8:9], v[36:37], -0.5, v[8:9]
	v_add_f64 v[36:37], v[151:152], v[116:117]
	v_fma_f64 v[116:117], v[62:63], s[6:7], v[171:172]
	v_fma_f64 v[151:152], v[62:63], s[0:1], v[171:172]
	;; [unrolled: 1-line block ×4, first 2 shown]
	v_add_f64 v[163:164], v[2:3], v[112:113]
	v_add_f64 v[155:156], v[4:5], v[155:156]
	v_fma_f64 v[2:3], v[195:196], s[6:7], v[110:111]
	v_fma_f64 v[4:5], v[195:196], s[0:1], v[110:111]
	v_add_f64 v[110:111], v[205:206], v[193:194]
	v_fma_f64 v[112:113], v[203:204], s[8:9], v[207:208]
	v_fma_f64 v[211:212], v[118:119], s[0:1], v[26:27]
	v_add_f64 v[20:21], v[20:21], v[181:182]
	v_add_f64 v[12:13], v[12:13], v[16:17]
	v_fma_f64 v[16:17], v[177:178], s[0:1], v[185:186]
	v_fma_f64 v[181:182], v[199:200], s[8:9], v[209:210]
	;; [unrolled: 1-line block ×8, first 2 shown]
	v_add_f64 v[10:11], v[10:11], v[14:15]
	v_fma_f64 v[116:117], v[149:150], s[8:9], v[116:117]
	v_fma_f64 v[149:150], v[149:150], s[16:17], v[151:152]
	;; [unrolled: 1-line block ×4, first 2 shown]
	v_add_f64 v[62:63], v[197:198], v[159:160]
	v_fma_f64 v[159:160], v[34:35], s[0:1], v[183:184]
	v_fma_f64 v[171:172], v[34:35], s[6:7], v[183:184]
	;; [unrolled: 1-line block ×7, first 2 shown]
	v_mul_f64 v[153:154], v[153:154], s[22:23]
	v_fma_f64 v[16:17], v[118:119], s[8:9], v[16:17]
	v_fma_f64 v[118:119], v[12:13], s[14:15], v[181:182]
	;; [unrolled: 1-line block ×6, first 2 shown]
	v_add_f64 v[30:31], v[30:31], v[179:180]
	v_fma_f64 v[6:7], v[195:196], s[8:9], v[6:7]
	v_add_f64 v[32:33], v[32:33], v[40:41]
	v_fma_f64 v[4:5], v[157:158], s[8:9], v[4:5]
	v_fma_f64 v[110:111], v[195:196], s[16:17], v[173:174]
	v_mul_f64 v[157:158], v[165:166], s[0:1]
	v_mul_f64 v[165:166], v[187:188], s[20:21]
	;; [unrolled: 1-line block ×3, first 2 shown]
	v_add_f64 v[167:168], v[201:202], v[191:192]
	v_fma_f64 v[159:160], v[38:39], s[8:9], v[159:160]
	v_fma_f64 v[40:41], v[34:35], s[8:9], v[183:184]
	;; [unrolled: 1-line block ×3, first 2 shown]
	v_mul_f64 v[34:35], v[112:113], s[16:17]
	v_fma_f64 v[14:15], v[10:11], s[14:15], v[14:15]
	v_fma_f64 v[38:39], v[38:39], s[16:17], v[171:172]
	;; [unrolled: 1-line block ×4, first 2 shown]
	v_mul_f64 v[20:21], v[118:119], s[6:7]
	v_fma_f64 v[10:11], v[10:11], s[14:15], v[26:27]
	v_mul_f64 v[26:27], v[12:13], s[6:7]
	v_fma_f64 v[153:154], v[62:63], s[14:15], v[2:3]
	v_mul_f64 v[173:174], v[28:29], s[16:17]
	v_mul_f64 v[2:3], v[28:29], s[22:23]
	v_fma_f64 v[28:29], v[30:31], s[14:15], v[6:7]
	v_mul_f64 v[171:172], v[18:19], s[8:9]
	v_fma_f64 v[116:117], v[64:65], s[14:15], v[116:117]
	;; [unrolled: 2-line block ×3, first 2 shown]
	v_fma_f64 v[149:150], v[108:109], s[14:15], v[157:158]
	v_fma_f64 v[157:158], v[161:162], s[0:1], v[165:166]
	;; [unrolled: 1-line block ×7, first 2 shown]
	v_mul_f64 v[177:178], v[14:15], s[0:1]
	v_fma_f64 v[38:39], v[167:168], s[14:15], v[38:39]
	v_fma_f64 v[34:35], v[32:33], s[14:15], v[40:41]
	v_fma_f64 v[32:33], v[32:33], s[14:15], v[8:9]
	v_fma_f64 v[14:15], v[14:15], s[14:15], v[20:21]
	v_add_f64 v[106:107], v[175:176], v[169:170]
	v_fma_f64 v[18:19], v[10:11], s[20:21], v[26:27]
	s_load_dwordx2 s[4:5], s[4:5], 0x0
	v_fma_f64 v[20:21], v[16:17], s[22:23], v[173:174]
	v_fma_f64 v[165:166], v[16:17], s[8:9], v[2:3]
	v_add_f64 v[2:3], v[163:164], v[22:23]
	v_add_f64 v[16:17], v[22:23], -v[163:164]
	v_mul_u32_u24_e32 v22, 10, v0
	v_fma_f64 v[159:160], v[10:11], s[0:1], v[12:13]
	v_fma_f64 v[26:27], v[112:113], s[18:19], v[171:172]
	v_add_f64 v[112:113], v[116:117], -v[149:150]
	v_and_b32_e32 v167, 0xff, v126
	v_add_f64 v[172:173], v[155:156], v[24:25]
	v_add_f64 v[186:187], v[24:25], -v[155:156]
	v_add_f64 v[108:109], v[151:152], v[114:115]
	v_add_f64 v[110:111], v[151:152], -v[114:115]
	;; [unrolled: 2-line block ×3, first 2 shown]
	v_fma_f64 v[40:41], v[118:119], s[14:15], v[177:178]
	v_lshl_add_u32 v119, v22, 3, 0
	v_mul_i32_i24_e32 v22, 10, v126
	v_add_f64 v[10:11], v[161:162], v[14:15]
	v_add_f64 v[8:9], v[161:162], -v[14:15]
	v_add_f64 v[12:13], v[28:29], v[18:19]
	v_add_f64 v[18:19], v[28:29], -v[18:19]
	;; [unrolled: 2-line block ×3, first 2 shown]
	v_lshl_add_u32 v153, v22, 3, 0
	v_mul_i32_i24_e32 v22, 10, v128
	v_add_f64 v[115:116], v[116:117], v[149:150]
	v_add_f64 v[117:118], v[64:65], v[157:158]
	;; [unrolled: 1-line block ×3, first 2 shown]
	v_add_f64 v[190:191], v[38:39], -v[165:166]
	v_and_b32_e32 v166, 0xff, v0
	v_add_f64 v[151:152], v[169:170], -v[175:176]
	v_add_f64 v[149:150], v[36:37], v[120:121]
	v_lshl_add_u32 v154, v22, 3, 0
	ds_write_b128 v119, v[94:97]
	ds_write_b128 v119, v[102:105] offset:16
	ds_write_b128 v119, v[86:89] offset:32
	;; [unrolled: 1-line block ×4, first 2 shown]
	ds_write_b128 v153, v[46:49]
	ds_write_b128 v153, v[50:53] offset:16
	ds_write_b128 v153, v[54:57] offset:32
	ds_write_b128 v153, v[42:45] offset:48
	ds_write_b128 v153, v[58:61] offset:64
	ds_write_b128 v154, v[2:5]
	ds_write_b128 v154, v[10:13] offset:16
	ds_write_b128 v154, v[14:17] offset:32
	ds_write_b128 v154, v[6:9] offset:48
	v_mul_lo_u16 v50, 0xcd, v166
	v_mul_lo_u16 v51, 0xcd, v167
	v_mad_i32_i24 v155, 0xffffffb8, v0, v119
	v_lshl_add_u32 v156, v143, 3, 0
	v_add_f64 v[168:169], v[64:65], -v[157:158]
	v_lshrrev_b16 v114, 11, v50
	v_lshrrev_b16 v162, 11, v51
	v_lshl_add_u32 v157, v134, 3, 0
	v_lshl_add_u32 v158, v147, 3, 0
	v_add_f64 v[174:175], v[30:31], v[26:27]
	v_mul_lo_u16 v50, v114, 10
	v_add_f64 v[176:177], v[30:31], -v[26:27]
	v_add_f64 v[178:179], v[34:35], -v[40:41]
	v_add_f64 v[182:183], v[32:33], v[159:160]
	v_add_f64 v[188:189], v[32:33], -v[159:160]
	v_mad_i32_i24 v131, 0xffffffb8, v126, v153
	v_lshl_add_u32 v159, v145, 3, 0
	v_add_f64 v[170:171], v[36:37], -v[120:121]
	v_add_f64 v[180:181], v[34:35], v[40:41]
	v_mad_i32_i24 v137, 0xffffffb8, v128, v154
	ds_write_b128 v154, v[18:21] offset:64
	s_waitcnt lgkmcnt(0)
	s_barrier
	buffer_gl0_inv
	ds_read2st64_b64 v[2:5], v155 offset1:12
	ds_read2st64_b64 v[14:17], v155 offset0:28 offset1:30
	ds_read2st64_b64 v[46:49], v155 offset0:40 offset1:42
	;; [unrolled: 1-line block ×6, first 2 shown]
	ds_read_b64 v[60:61], v131
	ds_read_b64 v[58:59], v137
	ds_read2st64_b64 v[34:37], v155 offset0:14 offset1:16
	ds_read2st64_b64 v[26:29], v155 offset0:24 offset1:26
	;; [unrolled: 1-line block ×4, first 2 shown]
	ds_read_b64 v[88:89], v156
	ds_read_b64 v[86:87], v157
	;; [unrolled: 1-line block ×4, first 2 shown]
	ds_read2st64_b64 v[30:33], v155 offset0:56 offset1:58
	s_waitcnt lgkmcnt(0)
	s_barrier
	buffer_gl0_inv
	ds_write_b128 v119, v[82:85]
	ds_write_b128 v119, v[74:77] offset:16
	ds_write_b128 v119, v[78:81] offset:32
	;; [unrolled: 1-line block ×4, first 2 shown]
	ds_write_b128 v153, v[106:109]
	ds_write_b128 v153, v[115:118] offset:16
	ds_write_b128 v153, v[149:152] offset:32
	v_sub_nc_u16 v115, v0, v50
	v_mov_b32_e32 v54, 5
	v_mul_lo_u16 v50, v162, 10
	v_mov_b32_e32 v55, 0xcccd
	ds_write_b128 v153, v[110:113] offset:48
	ds_write_b128 v153, v[168:171] offset:64
	ds_write_b128 v154, v[172:175]
	ds_write_b128 v154, v[180:183] offset:16
	v_mul_u32_u24_sdwa v51, v115, v54 dst_sel:DWORD dst_unused:UNUSED_PAD src0_sel:BYTE_0 src1_sel:DWORD
	v_sub_nc_u16 v163, v126, v50
	v_mul_u32_u24_sdwa v50, v128, v55 dst_sel:DWORD dst_unused:UNUSED_PAD src0_sel:WORD_0 src1_sel:DWORD
	ds_write_b128 v154, v[184:187] offset:32
	ds_write_b128 v154, v[176:179] offset:48
	;; [unrolled: 1-line block ×3, first 2 shown]
	v_lshlrev_b32_e32 v56, 4, v51
	v_mul_u32_u24_sdwa v51, v163, v54 dst_sel:DWORD dst_unused:UNUSED_PAD src0_sel:BYTE_0 src1_sel:DWORD
	v_lshrrev_b32_e32 v161, 19, v50
	s_waitcnt lgkmcnt(0)
	s_barrier
	buffer_gl0_inv
	v_lshlrev_b32_e32 v57, 4, v51
	global_load_dwordx4 v[66:69], v56, s[12:13] offset:48
	v_mul_lo_u16 v50, v161, 10
	v_mul_u32_u24_sdwa v75, v147, v55 dst_sel:DWORD dst_unused:UNUSED_PAD src0_sel:WORD_0 src1_sel:DWORD
	v_mul_u32_u24_sdwa v55, v145, v55 dst_sel:DWORD dst_unused:UNUSED_PAD src0_sel:WORD_0 src1_sel:DWORD
	global_load_dwordx4 v[70:73], v57, s[12:13] offset:48
	s_mov_b32 s6, 0xe8584caa
	v_sub_nc_u16 v160, v128, v50
	v_lshrrev_b32_e32 v165, 19, v75
	v_lshrrev_b32_e32 v168, 19, v55
	s_mov_b32 s7, 0xbfebb67a
	s_mov_b32 s1, 0x3febb67a
	v_mul_u32_u24_sdwa v50, v160, v54 dst_sel:DWORD dst_unused:UNUSED_PAD src0_sel:WORD_0 src1_sel:DWORD
	v_mul_lo_u16 v75, v165, 10
	v_mul_lo_u16 v55, v168, 10
	s_mov_b32 s0, s6
	v_mov_b32_e32 v139, 3
	v_lshlrev_b32_e32 v74, 4, v50
	s_clause 0x7
	global_load_dwordx4 v[76:79], v57, s[12:13] offset:32
	global_load_dwordx4 v[80:83], v74, s[12:13] offset:32
	global_load_dwordx4 v[90:93], v57, s[12:13] offset:64
	global_load_dwordx4 v[50:53], v56, s[12:13] offset:32
	global_load_dwordx4 v[94:97], v56, s[12:13] offset:64
	global_load_dwordx4 v[98:101], v74, s[12:13] offset:64
	global_load_dwordx4 v[102:105], v74, s[12:13]
	global_load_dwordx4 v[106:109], v56, s[12:13]
	v_sub_nc_u16 v164, v147, v75
	v_sub_nc_u16 v169, v145, v55
	v_mul_u32_u24_sdwa v75, v164, v54 dst_sel:DWORD dst_unused:UNUSED_PAD src0_sel:WORD_0 src1_sel:DWORD
	v_mul_u32_u24_sdwa v54, v169, v54 dst_sel:DWORD dst_unused:UNUSED_PAD src0_sel:WORD_0 src1_sel:DWORD
	v_lshlrev_b32_e32 v75, 4, v75
	s_clause 0x6
	global_load_dwordx4 v[110:113], v75, s[12:13]
	global_load_dwordx4 v[116:119], v56, s[12:13] offset:16
	global_load_dwordx4 v[170:173], v74, s[12:13] offset:16
	;; [unrolled: 1-line block ×6, first 2 shown]
	v_lshlrev_b32_e32 v54, 4, v54
	s_clause 0x7
	global_load_dwordx4 v[190:193], v54, s[12:13]
	global_load_dwordx4 v[194:197], v54, s[12:13] offset:16
	global_load_dwordx4 v[198:201], v57, s[12:13]
	global_load_dwordx4 v[202:205], v75, s[12:13] offset:32
	global_load_dwordx4 v[206:209], v54, s[12:13] offset:32
	;; [unrolled: 1-line block ×5, first 2 shown]
	ds_read2st64_b64 v[149:152], v155 offset0:40 offset1:42
	ds_read2st64_b64 v[218:221], v155 offset0:32 offset1:34
	;; [unrolled: 1-line block ×3, first 2 shown]
	s_waitcnt vmcnt(24) lgkmcnt(2)
	v_mul_f64 v[74:75], v[149:150], v[68:69]
	v_mul_f64 v[68:69], v[46:47], v[68:69]
	s_waitcnt vmcnt(23)
	v_mul_f64 v[120:121], v[151:152], v[72:73]
	v_mul_f64 v[234:235], v[48:49], v[72:73]
	s_waitcnt vmcnt(22) lgkmcnt(1)
	v_mul_f64 v[236:237], v[218:219], v[78:79]
	v_mul_f64 v[78:79], v[42:43], v[78:79]
	s_waitcnt vmcnt(21)
	v_mul_f64 v[238:239], v[220:221], v[82:83]
	v_mul_f64 v[240:241], v[44:45], v[82:83]
	ds_read2st64_b64 v[226:229], v155 offset0:28 offset1:30
	ds_read2st64_b64 v[82:85], v155 offset0:14 offset1:16
	;; [unrolled: 1-line block ×3, first 2 shown]
	v_fma_f64 v[74:75], v[46:47], v[66:67], v[74:75]
	v_fma_f64 v[72:73], v[149:150], v[66:67], -v[68:69]
	s_waitcnt vmcnt(20) lgkmcnt(3)
	v_mul_f64 v[66:67], v[222:223], v[92:93]
	s_waitcnt vmcnt(19)
	v_mul_f64 v[149:150], v[16:17], v[52:53]
	v_fma_f64 v[46:47], v[48:49], v[70:71], v[120:121]
	s_waitcnt vmcnt(18)
	v_mul_f64 v[120:121], v[8:9], v[96:97]
	v_fma_f64 v[48:49], v[151:152], v[70:71], -v[234:235]
	s_waitcnt vmcnt(17)
	v_mul_f64 v[234:235], v[224:225], v[100:101]
	v_mul_f64 v[92:93], v[38:39], v[92:93]
	v_fma_f64 v[151:152], v[42:43], v[76:77], v[236:237]
	ds_read_b64 v[236:237], v156
	v_fma_f64 v[70:71], v[218:219], v[76:77], -v[78:79]
	v_mul_f64 v[76:77], v[40:41], v[100:101]
	v_fma_f64 v[44:45], v[44:45], v[80:81], v[238:239]
	s_waitcnt lgkmcnt(3)
	v_mul_f64 v[100:101], v[228:229], v[52:53]
	s_waitcnt vmcnt(16) lgkmcnt(2)
	v_mul_f64 v[238:239], v[82:83], v[104:105]
	s_waitcnt lgkmcnt(1)
	v_mul_f64 v[96:97], v[232:233], v[96:97]
	v_mul_f64 v[104:105], v[34:35], v[104:105]
	v_fma_f64 v[52:53], v[38:39], v[90:91], v[66:67]
	v_fma_f64 v[42:43], v[228:229], v[50:51], -v[149:150]
	s_waitcnt vmcnt(15)
	v_mul_f64 v[149:150], v[88:89], v[108:109]
	v_fma_f64 v[38:39], v[232:233], v[94:95], -v[120:121]
	v_fma_f64 v[68:69], v[220:221], v[80:81], -v[240:241]
	ds_read_b64 v[240:241], v157
	ds_read2st64_b64 v[218:221], v155 offset0:24 offset1:26
	v_fma_f64 v[40:41], v[40:41], v[98:99], v[234:235]
	ds_read2st64_b64 v[232:235], v155 offset0:44 offset1:46
	ds_read_b64 v[80:81], v158
	ds_read_b64 v[78:79], v159
	v_fma_f64 v[66:67], v[222:223], v[90:91], -v[92:93]
	s_waitcnt lgkmcnt(5)
	v_mul_f64 v[92:93], v[236:237], v[108:109]
	s_waitcnt vmcnt(14)
	v_mul_f64 v[108:109], v[36:37], v[112:113]
	v_fma_f64 v[76:77], v[224:225], v[98:99], -v[76:77]
	v_mul_f64 v[98:99], v[84:85], v[112:113]
	v_fma_f64 v[50:51], v[16:17], v[50:51], v[100:101]
	v_fma_f64 v[34:35], v[34:35], v[102:103], v[238:239]
	;; [unrolled: 1-line block ×3, first 2 shown]
	s_waitcnt vmcnt(12)
	v_mul_f64 v[96:97], v[26:27], v[172:173]
	v_fma_f64 v[90:91], v[82:83], v[102:103], -v[104:105]
	ds_read2st64_b64 v[222:225], v155 offset0:18 offset1:22
	s_waitcnt vmcnt(11)
	v_mul_f64 v[82:83], v[28:29], v[176:177]
	s_waitcnt lgkmcnt(5)
	v_mul_f64 v[16:17], v[240:241], v[118:119]
	s_waitcnt lgkmcnt(4)
	v_mul_f64 v[8:9], v[218:219], v[172:173]
	v_mul_f64 v[100:101], v[220:221], v[176:177]
	v_fma_f64 v[172:173], v[236:237], v[106:107], -v[149:150]
	v_add_f64 v[120:121], v[42:43], v[38:39]
	s_waitcnt vmcnt(10) lgkmcnt(3)
	v_mul_f64 v[102:103], v[232:233], v[180:181]
	v_mul_f64 v[104:105], v[22:23], v[180:181]
	s_waitcnt vmcnt(8)
	v_mul_f64 v[176:177], v[24:25], v[184:185]
	v_fma_f64 v[149:150], v[88:89], v[106:107], v[92:93]
	v_mul_f64 v[106:107], v[234:235], v[184:185]
	v_fma_f64 v[88:89], v[84:85], v[110:111], -v[108:109]
	v_fma_f64 v[36:37], v[36:37], v[110:111], v[98:99]
	v_add_f64 v[108:109], v[50:51], -v[112:113]
	v_fma_f64 v[96:97], v[218:219], v[170:171], -v[96:97]
	v_fma_f64 v[180:181], v[86:87], v[116:117], v[16:17]
	v_add_f64 v[16:17], v[50:51], v[112:113]
	v_fma_f64 v[94:95], v[26:27], v[170:171], v[8:9]
	v_fma_f64 v[92:93], v[28:29], v[174:175], v[100:101]
	v_fma_f64 v[110:111], v[120:121], -0.5, v[172:173]
	v_mul_f64 v[8:9], v[86:87], v[118:119]
	s_waitcnt lgkmcnt(0)
	v_mul_f64 v[118:119], v[224:225], v[188:189]
	v_fma_f64 v[100:101], v[22:23], v[178:179], v[102:103]
	v_mul_f64 v[102:103], v[20:21], v[188:189]
	s_waitcnt vmcnt(7)
	v_mul_f64 v[120:121], v[222:223], v[192:193]
	v_fma_f64 v[98:99], v[24:25], v[182:183], v[106:107]
	v_mul_f64 v[106:107], v[18:19], v[192:193]
	s_waitcnt vmcnt(6)
	v_mul_f64 v[170:171], v[226:227], v[196:197]
	v_fma_f64 v[86:87], v[220:221], v[174:175], -v[82:83]
	v_fma_f64 v[84:85], v[232:233], v[178:179], -v[104:105]
	;; [unrolled: 1-line block ×3, first 2 shown]
	s_waitcnt vmcnt(5)
	v_mul_f64 v[174:175], v[4:5], v[200:201]
	v_add_f64 v[182:183], v[42:43], -v[38:39]
	ds_read2st64_b64 v[26:29], v155 offset0:36 offset1:38
	ds_read2st64_b64 v[22:25], v155 offset1:12
	v_add_f64 v[176:177], v[180:181], v[74:75]
	v_fma_f64 v[178:179], v[16:17], -0.5, v[149:150]
	v_fma_f64 v[184:185], v[108:109], s[0:1], v[110:111]
	v_fma_f64 v[188:189], v[240:241], v[116:117], -v[8:9]
	v_fma_f64 v[104:105], v[20:21], v[186:187], v[118:119]
	v_mul_f64 v[20:21], v[14:15], v[196:197]
	v_fma_f64 v[8:9], v[224:225], v[186:187], -v[102:103]
	v_fma_f64 v[186:187], v[108:109], s[6:7], v[110:111]
	s_waitcnt vmcnt(4)
	v_mul_f64 v[110:111], v[10:11], v[204:205]
	v_fma_f64 v[192:193], v[18:19], v[190:191], v[120:121]
	ds_read2st64_b64 v[16:19], v155 offset0:56 offset1:58
	v_fma_f64 v[102:103], v[222:223], v[190:191], -v[106:107]
	v_fma_f64 v[106:107], v[14:15], v[194:195], v[170:171]
	s_waitcnt vmcnt(2)
	v_mul_f64 v[170:171], v[230:231], v[212:213]
	s_waitcnt lgkmcnt(2)
	v_mul_f64 v[118:119], v[26:27], v[204:205]
	v_mul_f64 v[196:197], v[28:29], v[208:209]
	;; [unrolled: 1-line block ×3, first 2 shown]
	s_waitcnt lgkmcnt(1)
	v_mul_f64 v[190:191], v[24:25], v[200:201]
	v_fma_f64 v[108:109], v[24:25], v[198:199], -v[174:175]
	v_add_f64 v[24:25], v[149:150], v[50:51]
	v_fma_f64 v[50:51], v[176:177], -0.5, v[2:3]
	v_add_f64 v[174:175], v[70:71], v[66:67]
	v_add_f64 v[2:3], v[2:3], v[180:181]
	v_fma_f64 v[176:177], v[182:183], s[6:7], v[178:179]
	v_mul_f64 v[200:201], v[184:185], s[6:7]
	v_add_f64 v[204:205], v[188:189], -v[72:73]
	s_waitcnt vmcnt(1)
	v_mul_f64 v[208:209], v[30:31], v[216:217]
	v_fma_f64 v[116:117], v[226:227], v[194:195], -v[20:21]
	v_fma_f64 v[20:21], v[182:183], s[0:1], v[178:179]
	v_mul_f64 v[178:179], v[186:187], s[6:7]
	v_fma_f64 v[120:121], v[26:27], v[202:203], -v[110:111]
	s_waitcnt vmcnt(0) lgkmcnt(0)
	v_mul_f64 v[26:27], v[18:19], v[56:57]
	v_mul_f64 v[56:57], v[32:33], v[56:57]
	v_mul_f64 v[182:183], v[6:7], v[212:213]
	v_mul_f64 v[194:195], v[16:17], v[216:217]
	v_fma_f64 v[149:150], v[6:7], v[210:211], v[170:171]
	v_mov_b32_e32 v171, 0x1e0
	v_fma_f64 v[10:11], v[10:11], v[202:203], v[118:119]
	v_fma_f64 v[118:119], v[28:29], v[206:207], -v[14:15]
	v_fma_f64 v[4:5], v[4:5], v[198:199], v[190:191]
	v_add_f64 v[14:15], v[151:152], v[52:53]
	v_add_f64 v[6:7], v[151:152], -v[52:53]
	v_add_f64 v[24:25], v[24:25], v[112:113]
	v_fma_f64 v[28:29], v[174:175], -0.5, v[108:109]
	v_add_f64 v[2:3], v[2:3], v[74:75]
	v_mul_u32_u24_sdwa v170, v114, v171 dst_sel:DWORD dst_unused:UNUSED_PAD src0_sel:WORD_0 src1_sel:DWORD
	v_fma_f64 v[174:175], v[176:177], 0.5, v[200:201]
	v_fma_f64 v[190:191], v[204:205], s[6:7], v[50:51]
	v_fma_f64 v[110:111], v[16:17], v[214:215], -v[208:209]
	v_fma_f64 v[16:17], v[204:205], s[0:1], v[50:51]
	v_fma_f64 v[12:13], v[12:13], v[206:207], v[196:197]
	v_fma_f64 v[50:51], v[20:21], -0.5, v[178:179]
	v_lshlrev_b32_sdwa v178, v139, v115 dst_sel:DWORD dst_unused:UNUSED_PAD src0_sel:DWORD src1_sel:BYTE_0
	v_add_f64 v[196:197], v[188:189], v[72:73]
	v_fma_f64 v[114:115], v[18:19], v[54:55], -v[56:57]
	v_fma_f64 v[112:113], v[230:231], v[210:211], -v[182:183]
	v_fma_f64 v[30:31], v[30:31], v[214:215], v[194:195]
	v_fma_f64 v[26:27], v[32:33], v[54:55], v[26:27]
	v_add3_u32 v170, 0, v170, v178
	v_add_f64 v[32:33], v[68:69], v[76:77]
	v_add_f64 v[54:55], v[70:71], -v[66:67]
	v_add_f64 v[56:57], v[104:105], v[46:47]
	v_fma_f64 v[14:15], v[14:15], -0.5, v[4:5]
	v_add_f64 v[4:5], v[4:5], v[151:152]
	v_mul_u32_u24_sdwa v171, v162, v171 dst_sel:DWORD dst_unused:UNUSED_PAD src0_sel:WORD_0 src1_sel:DWORD
	v_fma_f64 v[178:179], v[6:7], s[0:1], v[28:29]
	v_add_f64 v[182:183], v[2:3], v[24:25]
	v_add_f64 v[2:3], v[2:3], -v[24:25]
	v_fma_f64 v[194:195], v[6:7], s[6:7], v[28:29]
	v_add_f64 v[151:152], v[190:191], v[174:175]
	v_add_f64 v[24:25], v[120:121], v[110:111]
	v_add_f64 v[174:175], v[190:191], -v[174:175]
	v_add_f64 v[28:29], v[44:45], v[40:41]
	v_add_f64 v[190:191], v[16:17], v[50:51]
	v_add_f64 v[6:7], v[16:17], -v[50:51]
	v_fma_f64 v[18:19], v[196:197], -0.5, v[22:23]
	v_add_f64 v[16:17], v[118:119], v[114:115]
	ds_read_b64 v[196:197], v131
	ds_read_b64 v[198:199], v137
	s_waitcnt lgkmcnt(0)
	s_barrier
	buffer_gl0_inv
	v_add_f64 v[50:51], v[44:45], -v[40:41]
	v_fma_f64 v[32:33], v[32:33], -0.5, v[90:91]
	v_add_f64 v[204:205], v[10:11], -v[30:31]
	v_fma_f64 v[200:201], v[54:55], s[6:7], v[14:15]
	v_add_f64 v[4:5], v[4:5], v[52:53]
	v_add_f64 v[52:53], v[10:11], v[30:31]
	v_mul_f64 v[202:203], v[178:179], s[6:7]
	v_add_f64 v[22:23], v[22:23], v[188:189]
	v_add_f64 v[188:189], v[60:61], v[104:105]
	v_fma_f64 v[56:57], v[56:57], -0.5, v[60:61]
	ds_write2_b64 v170, v[182:183], v[151:152] offset1:10
	v_fma_f64 v[24:25], v[24:25], -0.5, v[88:89]
	ds_write2_b64 v170, v[190:191], v[2:3] offset0:20 offset1:30
	ds_write2_b64 v170, v[174:175], v[6:7] offset0:40 offset1:50
	v_add_f64 v[2:3], v[12:13], v[26:27]
	v_add_f64 v[6:7], v[12:13], -v[26:27]
	v_fma_f64 v[16:17], v[16:17], -0.5, v[102:103]
	v_add_f64 v[60:61], v[8:9], -v[48:49]
	v_fma_f64 v[182:183], v[54:55], s[0:1], v[14:15]
	v_mul_f64 v[14:15], v[194:195], s[6:7]
	v_add_f64 v[54:55], v[94:95], v[100:101]
	v_fma_f64 v[28:29], v[28:29], -0.5, v[34:35]
	v_add_f64 v[151:152], v[68:69], -v[76:77]
	v_fma_f64 v[174:175], v[50:51], s[0:1], v[32:33]
	v_lshlrev_b32_sdwa v224, v139, v163 dst_sel:DWORD dst_unused:UNUSED_PAD src0_sel:DWORD src1_sel:BYTE_0
	v_fma_f64 v[190:191], v[50:51], s[6:7], v[32:33]
	v_add_f64 v[50:51], v[92:93], v[98:99]
	v_fma_f64 v[162:163], v[200:201], 0.5, v[202:203]
	v_fma_f64 v[52:53], v[52:53], -0.5, v[36:37]
	v_add_f64 v[202:203], v[120:121], -v[110:111]
	v_add_f64 v[34:35], v[34:35], v[44:45]
	v_add_f64 v[44:45], v[118:119], -v[114:115]
	v_fma_f64 v[206:207], v[204:205], s[0:1], v[24:25]
	v_fma_f64 v[204:205], v[204:205], s[6:7], v[24:25]
	v_add_f64 v[24:25], v[106:107], v[149:150]
	v_add_f64 v[188:189], v[188:189], v[46:47]
	v_fma_f64 v[2:3], v[2:3], -0.5, v[192:193]
	v_add_f64 v[10:11], v[36:37], v[10:11]
	v_fma_f64 v[210:211], v[6:7], s[0:1], v[16:17]
	v_fma_f64 v[212:213], v[6:7], s[6:7], v[16:17]
	;; [unrolled: 1-line block ×4, first 2 shown]
	v_fma_f64 v[14:15], v[182:183], -0.5, v[14:15]
	v_fma_f64 v[54:55], v[54:55], -0.5, v[58:59]
	v_add_f64 v[6:7], v[58:59], v[94:95]
	v_fma_f64 v[214:215], v[151:152], s[6:7], v[28:29]
	v_mul_f64 v[16:17], v[174:175], s[6:7]
	v_add_f64 v[58:59], v[96:97], -v[84:85]
	v_fma_f64 v[216:217], v[151:152], s[0:1], v[28:29]
	v_mul_f64 v[28:29], v[190:191], s[6:7]
	v_fma_f64 v[36:37], v[50:51], -0.5, v[64:65]
	v_add_f64 v[50:51], v[64:65], v[92:93]
	v_fma_f64 v[218:219], v[202:203], s[6:7], v[52:53]
	v_add_f64 v[64:65], v[86:87], -v[82:83]
	v_mul_f64 v[60:61], v[206:207], s[6:7]
	v_fma_f64 v[202:203], v[202:203], s[0:1], v[52:53]
	v_mul_f64 v[52:53], v[204:205], s[6:7]
	v_add_f64 v[12:13], v[192:193], v[12:13]
	v_fma_f64 v[24:25], v[24:25], -0.5, v[62:63]
	v_add_f64 v[151:152], v[116:117], -v[112:113]
	v_add_f64 v[62:63], v[62:63], v[106:107]
	v_fma_f64 v[192:193], v[44:45], s[6:7], v[2:3]
	v_mul_f64 v[220:221], v[210:211], s[6:7]
	v_fma_f64 v[222:223], v[44:45], s[0:1], v[2:3]
	v_mul_f64 v[2:3], v[212:213], s[6:7]
	v_add_f64 v[208:209], v[188:189], v[4:5]
	v_add_f64 v[44:45], v[32:33], v[162:163]
	v_add_f64 v[4:5], v[188:189], -v[4:5]
	v_add_f64 v[188:189], v[56:57], v[14:15]
	v_add_f64 v[34:35], v[34:35], v[40:41]
	;; [unrolled: 1-line block ×3, first 2 shown]
	v_fma_f64 v[16:17], v[214:215], 0.5, v[16:17]
	v_fma_f64 v[40:41], v[58:59], s[6:7], v[54:55]
	v_fma_f64 v[54:55], v[58:59], s[0:1], v[54:55]
	v_fma_f64 v[28:29], v[216:217], -0.5, v[28:29]
	v_add_f64 v[10:11], v[10:11], v[30:31]
	v_add_f64 v[30:31], v[50:51], v[98:99]
	v_fma_f64 v[50:51], v[218:219], 0.5, v[60:61]
	v_fma_f64 v[58:59], v[64:65], s[6:7], v[36:37]
	v_fma_f64 v[36:37], v[64:65], s[0:1], v[36:37]
	v_fma_f64 v[52:53], v[202:203], -0.5, v[52:53]
	v_add_f64 v[12:13], v[12:13], v[26:27]
	v_add_f64 v[26:27], v[62:63], v[149:150]
	v_fma_f64 v[60:61], v[151:152], s[6:7], v[24:25]
	v_fma_f64 v[62:63], v[192:193], 0.5, v[220:221]
	v_fma_f64 v[24:25], v[151:152], s[0:1], v[24:25]
	v_fma_f64 v[2:3], v[222:223], -0.5, v[2:3]
	v_add3_u32 v226, 0, v171, v224
	v_add_f64 v[32:33], v[32:33], -v[162:163]
	v_add_f64 v[14:15], v[56:57], -v[14:15]
	v_mul_u32_u24_e32 v64, 0x1e0, v161
	v_lshlrev_b32_sdwa v65, v139, v160 dst_sel:DWORD dst_unused:UNUSED_PAD src0_sel:DWORD src1_sel:WORD_0
	ds_write2_b64 v226, v[208:209], v[44:45] offset1:10
	ds_write2_b64 v226, v[188:189], v[4:5] offset0:20 offset1:30
	v_add_f64 v[4:5], v[6:7], v[34:35]
	v_add_f64 v[44:45], v[40:41], v[16:17]
	v_add_f64 v[6:7], v[6:7], -v[34:35]
	v_add_f64 v[34:35], v[54:55], v[28:29]
	v_add_f64 v[16:17], v[40:41], -v[16:17]
	v_add_f64 v[28:29], v[54:55], -v[28:29]
	v_add_f64 v[40:41], v[30:31], v[10:11]
	v_add_f64 v[54:55], v[58:59], v[50:51]
	v_add_f64 v[10:11], v[30:31], -v[10:11]
	v_add_f64 v[30:31], v[36:37], v[52:53]
	v_add_f64 v[50:51], v[58:59], -v[50:51]
	v_add_f64 v[36:37], v[36:37], -v[52:53]
	v_add_f64 v[52:53], v[26:27], v[12:13]
	v_add_f64 v[12:13], v[26:27], -v[12:13]
	v_add_f64 v[26:27], v[60:61], v[62:63]
	;; [unrolled: 2-line block ×4, first 2 shown]
	v_mul_f64 v[42:43], v[184:185], 0.5
	v_add_f64 v[60:61], v[180:181], -v[74:75]
	v_mul_f64 v[62:63], v[186:187], -0.5
	v_mul_u32_u24_e32 v74, 0x1e0, v165
	v_lshlrev_b32_sdwa v75, v139, v164 dst_sel:DWORD dst_unused:UNUSED_PAD src0_sel:DWORD src1_sel:WORD_0
	v_add3_u32 v173, 0, v64, v65
	v_mul_u32_u24_e32 v64, 0x1e0, v168
	v_lshlrev_b32_sdwa v65, v139, v169 dst_sel:DWORD dst_unused:UNUSED_PAD src0_sel:DWORD src1_sel:WORD_0
	ds_write2_b64 v226, v[32:33], v[14:15] offset0:40 offset1:50
	v_add3_u32 v227, 0, v74, v75
	ds_write2_b64 v173, v[4:5], v[44:45] offset1:10
	ds_write2_b64 v173, v[34:35], v[6:7] offset0:20 offset1:30
	v_lshl_add_u32 v162, v135, 3, 0
	v_add3_u32 v228, 0, v64, v65
	ds_write2_b64 v173, v[16:17], v[28:29] offset0:40 offset1:50
	ds_write2_b64 v227, v[40:41], v[54:55] offset1:10
	ds_write2_b64 v227, v[30:31], v[10:11] offset0:20 offset1:30
	ds_write2_b64 v227, v[50:51], v[36:37] offset0:40 offset1:50
	ds_write2_b64 v228, v[52:53], v[26:27] offset1:10
	ds_write2_b64 v228, v[58:59], v[12:13] offset0:20 offset1:30
	ds_write2_b64 v228, v[56:57], v[2:3] offset0:40 offset1:50
	v_add_f64 v[2:3], v[22:23], v[72:73]
	v_lshl_add_u32 v163, v136, 3, 0
	v_lshl_add_u32 v164, v138, 3, 0
	;; [unrolled: 1-line block ×4, first 2 shown]
	v_add_f64 v[208:209], v[8:9], v[48:49]
	v_add_f64 v[4:5], v[24:25], v[38:39]
	v_fma_f64 v[72:73], v[176:177], s[0:1], v[42:43]
	v_fma_f64 v[74:75], v[60:61], s[0:1], v[18:19]
	;; [unrolled: 1-line block ×4, first 2 shown]
	v_add_f64 v[220:221], v[96:97], v[84:85]
	v_add_f64 v[224:225], v[86:87], v[82:83]
	v_lshl_add_u32 v152, v130, 3, 0
	s_waitcnt lgkmcnt(0)
	s_barrier
	buffer_gl0_inv
	v_lshl_add_u32 v160, v132, 3, 0
	v_lshl_add_u32 v161, v133, 3, 0
	ds_read_b64 v[64:65], v131
	ds_read_b64 v[58:59], v137
	;; [unrolled: 1-line block ×10, first 2 shown]
	v_add_f64 v[188:189], v[196:197], v[8:9]
	v_add_f64 v[70:71], v[108:109], v[70:71]
	v_add_f64 v[46:47], v[104:105], -v[46:47]
	v_add_f64 v[96:97], v[198:199], v[96:97]
	v_mul_f64 v[104:105], v[194:195], -0.5
	v_add_f64 v[94:95], v[94:95], -v[100:101]
	v_fma_f64 v[108:109], v[208:209], -0.5, v[196:197]
	v_add_f64 v[176:177], v[2:3], v[4:5]
	v_add_f64 v[184:185], v[2:3], -v[4:5]
	v_add_f64 v[180:181], v[74:75], v[72:73]
	ds_read_b64 v[36:37], v162
	ds_read_b64 v[38:39], v163
	;; [unrolled: 1-line block ×4, first 2 shown]
	ds_read2st64_b64 v[2:5], v155 offset1:30
	ds_read2st64_b64 v[30:33], v155 offset0:32 offset1:34
	ds_read2st64_b64 v[22:25], v155 offset0:36 offset1:38
	v_add_f64 v[186:187], v[168:169], v[171:172]
	ds_read2st64_b64 v[26:29], v155 offset0:40 offset1:42
	ds_read2st64_b64 v[18:21], v155 offset0:44 offset1:46
	;; [unrolled: 1-line block ×5, first 2 shown]
	s_waitcnt lgkmcnt(0)
	s_barrier
	buffer_gl0_inv
	ds_write2_b64 v170, v[176:177], v[180:181] offset1:10
	ds_write2_b64 v170, v[186:187], v[184:185] offset0:20 offset1:30
	v_add_f64 v[176:177], v[116:117], v[112:113]
	v_add_f64 v[72:73], v[74:75], -v[72:73]
	v_add_f64 v[74:75], v[168:169], -v[171:172]
	v_mul_f64 v[168:169], v[178:179], 0.5
	v_fma_f64 v[171:172], v[220:221], -0.5, v[198:199]
	v_add_f64 v[68:69], v[90:91], v[68:69]
	v_mul_f64 v[90:91], v[174:175], 0.5
	v_add_f64 v[86:87], v[80:81], v[86:87]
	v_mul_f64 v[100:101], v[190:191], -0.5
	v_fma_f64 v[80:81], v[224:225], -0.5, v[80:81]
	v_add_f64 v[88:89], v[88:89], v[120:121]
	v_add_f64 v[92:93], v[92:93], -v[98:99]
	v_add_f64 v[98:99], v[78:79], v[116:117]
	v_mul_f64 v[116:117], v[206:207], 0.5
	v_mul_f64 v[120:121], v[204:205], -0.5
	v_add_f64 v[106:107], v[106:107], -v[149:150]
	v_add_f64 v[102:103], v[102:103], v[118:119]
	v_add_f64 v[66:67], v[70:71], v[66:67]
	v_mul_f64 v[70:71], v[210:211], 0.5
	v_mul_f64 v[118:119], v[212:213], -0.5
	v_add_f64 v[48:49], v[188:189], v[48:49]
	v_fma_f64 v[104:105], v[182:183], s[0:1], v[104:105]
	v_fma_f64 v[78:79], v[176:177], -0.5, v[78:79]
	v_add_f64 v[84:85], v[96:97], v[84:85]
	v_fma_f64 v[149:150], v[200:201], s[0:1], v[168:169]
	v_fma_f64 v[168:169], v[46:47], s[0:1], v[108:109]
	;; [unrolled: 1-line block ×4, first 2 shown]
	v_add_f64 v[68:69], v[68:69], v[76:77]
	v_fma_f64 v[76:77], v[94:95], s[6:7], v[171:172]
	v_fma_f64 v[90:91], v[214:215], s[0:1], v[90:91]
	;; [unrolled: 1-line block ×3, first 2 shown]
	v_add_f64 v[82:83], v[86:87], v[82:83]
	v_add_f64 v[86:87], v[88:89], v[110:111]
	v_fma_f64 v[88:89], v[92:93], s[0:1], v[80:81]
	v_fma_f64 v[80:81], v[92:93], s[6:7], v[80:81]
	;; [unrolled: 1-line block ×4, first 2 shown]
	v_add_f64 v[98:99], v[98:99], v[112:113]
	v_add_f64 v[102:103], v[102:103], v[114:115]
	v_fma_f64 v[70:71], v[192:193], s[0:1], v[70:71]
	v_add_f64 v[110:111], v[48:49], v[66:67]
	v_add_f64 v[48:49], v[48:49], -v[66:67]
	v_fma_f64 v[108:109], v[106:107], s[0:1], v[78:79]
	v_fma_f64 v[78:79], v[106:107], s[6:7], v[78:79]
	;; [unrolled: 1-line block ×3, first 2 shown]
	v_mul_lo_u16 v67, 0x89, v167
	v_add_f64 v[116:117], v[168:169], -v[149:150]
	v_add_f64 v[114:115], v[46:47], v[104:105]
	v_add_f64 v[104:105], v[46:47], -v[104:105]
	v_add_f64 v[118:119], v[84:85], v[68:69]
	;; [unrolled: 2-line block ×7, first 2 shown]
	v_add_f64 v[112:113], v[168:169], v[149:150]
	v_add_f64 v[80:81], v[80:81], -v[100:101]
	v_add_f64 v[100:101], v[98:99], v[102:103]
	v_add_f64 v[98:99], v[98:99], -v[102:103]
	;; [unrolled: 2-line block ×4, first 2 shown]
	v_mov_b32_e32 v149, 0x8889
	v_lshrrev_b16 v47, 13, v67
	ds_write2_b64 v170, v[72:73], v[74:75] offset0:40 offset1:50
	ds_write2_b64 v226, v[110:111], v[112:113] offset1:10
	v_mul_u32_u24_sdwa v66, v128, v149 dst_sel:DWORD dst_unused:UNUSED_PAD src0_sel:WORD_0 src1_sel:DWORD
	ds_write2_b64 v226, v[114:115], v[48:49] offset0:20 offset1:30
	ds_write2_b64 v226, v[116:117], v[104:105] offset0:40 offset1:50
	ds_write2_b64 v173, v[118:119], v[84:85] offset1:10
	ds_write2_b64 v173, v[96:97], v[68:69] offset0:20 offset1:30
	v_mul_lo_u16 v48, v47, 60
	ds_write2_b64 v173, v[90:91], v[76:77] offset0:40 offset1:50
	ds_write2_b64 v227, v[94:95], v[86:87] offset1:10
	ds_write2_b64 v227, v[92:93], v[82:83] offset0:20 offset1:30
	ds_write2_b64 v227, v[88:89], v[80:81] offset0:40 offset1:50
	ds_write2_b64 v228, v[100:101], v[102:103] offset1:10
	ds_write2_b64 v228, v[120:121], v[98:99] offset0:20 offset1:30
	v_mul_u32_u24_sdwa v80, v147, v149 dst_sel:DWORD dst_unused:UNUSED_PAD src0_sel:WORD_0 src1_sel:DWORD
	v_lshrrev_b32_e32 v46, 21, v66
	v_mov_b32_e32 v68, 4
	v_sub_nc_u16 v48, v126, v48
	v_mul_u32_u24_sdwa v77, v143, v149 dst_sel:DWORD dst_unused:UNUSED_PAD src0_sel:WORD_0 src1_sel:DWORD
	v_lshrrev_b32_e32 v49, 21, v80
	ds_write2_b64 v228, v[70:71], v[106:107] offset0:40 offset1:50
	v_mul_lo_u16 v70, v46, 60
	v_mul_u32_u24_sdwa v79, v145, v149 dst_sel:DWORD dst_unused:UNUSED_PAD src0_sel:WORD_0 src1_sel:DWORD
	v_lshlrev_b32_sdwa v69, v68, v48 dst_sel:DWORD dst_unused:UNUSED_PAD src0_sel:DWORD src1_sel:BYTE_0
	v_mul_lo_u16 v71, v49, 60
	v_lshrrev_b32_e32 v82, 21, v77
	v_sub_nc_u16 v85, v128, v70
	s_waitcnt lgkmcnt(0)
	v_lshrrev_b32_e32 v81, 21, v79
	s_barrier
	buffer_gl0_inv
	v_sub_nc_u16 v84, v147, v71
	global_load_dwordx4 v[87:90], v69, s[12:13] offset:800
	v_mul_lo_u16 v69, v82, 60
	v_lshlrev_b32_sdwa v70, v68, v85 dst_sel:DWORD dst_unused:UNUSED_PAD src0_sel:DWORD src1_sel:WORD_0
	v_mul_lo_u16 v72, v81, 60
	v_lshlrev_b32_sdwa v71, v68, v84 dst_sel:DWORD dst_unused:UNUSED_PAD src0_sel:DWORD src1_sel:WORD_0
	s_clause 0x1
	global_load_dwordx4 v[91:94], v70, s[12:13] offset:800
	global_load_dwordx4 v[95:98], v71, s[12:13] offset:800
	v_sub_nc_u16 v86, v143, v69
	v_mul_lo_u16 v69, 0x89, v166
	v_sub_nc_u16 v83, v145, v72
	v_mul_u32_u24_sdwa v76, v130, v149 dst_sel:DWORD dst_unused:UNUSED_PAD src0_sel:WORD_0 src1_sel:DWORD
	v_mul_u32_u24_sdwa v78, v141, v149 dst_sel:DWORD dst_unused:UNUSED_PAD src0_sel:WORD_0 src1_sel:DWORD
	v_lshlrev_b32_sdwa v70, v68, v86 dst_sel:DWORD dst_unused:UNUSED_PAD src0_sel:DWORD src1_sel:WORD_0
	v_lshrrev_b16 v222, 13, v69
	v_lshlrev_b32_sdwa v72, v68, v83 dst_sel:DWORD dst_unused:UNUSED_PAD src0_sel:DWORD src1_sel:WORD_0
	v_lshrrev_b32_e32 v223, 21, v76
	s_clause 0x1
	global_load_dwordx4 v[99:102], v72, s[12:13] offset:800
	global_load_dwordx4 v[103:106], v70, s[12:13] offset:800
	v_mul_lo_u16 v71, v222, 60
	v_mul_lo_u16 v70, v223, 60
	v_lshrrev_b32_e32 v121, 21, v78
	v_mul_u32_u24_sdwa v75, v132, v149 dst_sel:DWORD dst_unused:UNUSED_PAD src0_sel:WORD_0 src1_sel:DWORD
	v_mul_u32_u24_sdwa v74, v133, v149 dst_sel:DWORD dst_unused:UNUSED_PAD src0_sel:WORD_0 src1_sel:DWORD
	v_sub_nc_u16 v226, v0, v71
	v_sub_nc_u16 v228, v130, v70
	v_mul_lo_u16 v69, v121, 60
	v_lshrrev_b32_e32 v224, 21, v75
	v_lshrrev_b32_e32 v225, 21, v74
	v_lshlrev_b32_sdwa v70, v68, v226 dst_sel:DWORD dst_unused:UNUSED_PAD src0_sel:DWORD src1_sel:BYTE_0
	v_mul_u32_u24_sdwa v73, v134, v149 dst_sel:DWORD dst_unused:UNUSED_PAD src0_sel:WORD_0 src1_sel:DWORD
	v_sub_nc_u16 v227, v141, v69
	v_mul_lo_u16 v71, v224, 60
	v_mul_lo_u16 v69, v225, 60
	global_load_dwordx4 v[107:110], v70, s[12:13] offset:800
	v_mul_u32_u24_sdwa v72, v135, v149 dst_sel:DWORD dst_unused:UNUSED_PAD src0_sel:WORD_0 src1_sel:DWORD
	v_lshrrev_b32_e32 v231, 21, v73
	v_sub_nc_u16 v229, v132, v71
	v_sub_nc_u16 v230, v133, v69
	v_lshlrev_b32_sdwa v69, v68, v228 dst_sel:DWORD dst_unused:UNUSED_PAD src0_sel:DWORD src1_sel:WORD_0
	v_lshlrev_b32_sdwa v71, v68, v227 dst_sel:DWORD dst_unused:UNUSED_PAD src0_sel:DWORD src1_sel:WORD_0
	v_lshrrev_b32_e32 v232, 21, v72
	v_mul_lo_u16 v119, v231, 60
	v_lshlrev_b32_sdwa v48, v139, v48 dst_sel:DWORD dst_unused:UNUSED_PAD src0_sel:DWORD src1_sel:BYTE_0
	global_load_dwordx4 v[115:118], v69, s[12:13] offset:800
	v_lshlrev_b32_sdwa v70, v68, v229 dst_sel:DWORD dst_unused:UNUSED_PAD src0_sel:DWORD src1_sel:WORD_0
	global_load_dwordx4 v[111:114], v71, s[12:13] offset:800
	v_lshlrev_b32_sdwa v71, v68, v230 dst_sel:DWORD dst_unused:UNUSED_PAD src0_sel:DWORD src1_sel:WORD_0
	s_clause 0x1
	global_load_dwordx4 v[166:169], v70, s[12:13] offset:800
	global_load_dwordx4 v[170:173], v71, s[12:13] offset:800
	v_mul_u32_u24_sdwa v71, v136, v149 dst_sel:DWORD dst_unused:UNUSED_PAD src0_sel:WORD_0 src1_sel:DWORD
	v_mul_u32_u24_sdwa v70, v138, v149 dst_sel:DWORD dst_unused:UNUSED_PAD src0_sel:WORD_0 src1_sel:DWORD
	;; [unrolled: 1-line block ×3, first 2 shown]
	v_mul_lo_u16 v120, v232, 60
	v_sub_nc_u16 v236, v134, v119
	v_lshrrev_b32_e32 v233, 21, v71
	v_lshrrev_b32_e32 v234, 21, v70
	;; [unrolled: 1-line block ×3, first 2 shown]
	v_sub_nc_u16 v237, v135, v120
	v_mul_u32_u24_e32 v46, 0x3c0, v46
	v_mul_lo_u16 v149, v233, 60
	v_mul_lo_u16 v119, v234, 60
	v_mul_lo_u16 v120, v235, 60
	v_lshlrev_b32_sdwa v150, v68, v237 dst_sel:DWORD dst_unused:UNUSED_PAD src0_sel:DWORD src1_sel:WORD_0
	v_mul_u32_u24_e32 v49, 0x3c0, v49
	v_sub_nc_u16 v238, v136, v149
	v_sub_nc_u16 v239, v138, v119
	v_lshlrev_b32_sdwa v149, v68, v236 dst_sel:DWORD dst_unused:UNUSED_PAD src0_sel:DWORD src1_sel:WORD_0
	v_sub_nc_u16 v240, v140, v120
	s_clause 0x1
	global_load_dwordx4 v[174:177], v149, s[12:13] offset:800
	global_load_dwordx4 v[178:181], v150, s[12:13] offset:800
	v_lshlrev_b32_sdwa v119, v68, v238 dst_sel:DWORD dst_unused:UNUSED_PAD src0_sel:DWORD src1_sel:WORD_0
	v_lshlrev_b32_sdwa v120, v68, v239 dst_sel:DWORD dst_unused:UNUSED_PAD src0_sel:DWORD src1_sel:WORD_0
	;; [unrolled: 1-line block ×3, first 2 shown]
	s_clause 0x2
	global_load_dwordx4 v[182:185], v119, s[12:13] offset:800
	global_load_dwordx4 v[186:189], v120, s[12:13] offset:800
	;; [unrolled: 1-line block ×3, first 2 shown]
	ds_read2st64_b64 v[194:197], v155 offset0:32 offset1:34
	ds_read2st64_b64 v[198:201], v155 offset0:36 offset1:38
	;; [unrolled: 1-line block ×3, first 2 shown]
	ds_read2st64_b64 v[206:209], v155 offset1:30
	ds_read2st64_b64 v[210:213], v155 offset0:44 offset1:46
	v_cmp_gt_u32_e64 s0, 0x78, v0
	s_waitcnt vmcnt(14) lgkmcnt(4)
	v_mul_f64 v[119:120], v[194:195], v[89:90]
	v_mul_f64 v[89:90], v[30:31], v[89:90]
	s_waitcnt vmcnt(13)
	v_mul_f64 v[149:150], v[196:197], v[93:94]
	v_mul_f64 v[93:94], v[32:33], v[93:94]
	s_waitcnt vmcnt(12) lgkmcnt(3)
	v_mul_f64 v[214:215], v[198:199], v[97:98]
	v_mul_f64 v[97:98], v[22:23], v[97:98]
	s_waitcnt vmcnt(11)
	v_mul_f64 v[216:217], v[200:201], v[101:102]
	v_mul_f64 v[101:102], v[24:25], v[101:102]
	v_fma_f64 v[119:120], v[30:31], v[87:88], v[119:120]
	v_fma_f64 v[194:195], v[194:195], v[87:88], -v[89:90]
	ds_read2st64_b64 v[87:90], v155 offset0:52 offset1:54
	v_fma_f64 v[149:150], v[32:33], v[91:92], v[149:150]
	v_fma_f64 v[91:92], v[196:197], v[91:92], -v[93:94]
	s_waitcnt vmcnt(10) lgkmcnt(3)
	v_mul_f64 v[93:94], v[202:203], v[105:106]
	v_mul_f64 v[105:106], v[26:27], v[105:106]
	v_fma_f64 v[214:215], v[22:23], v[95:96], v[214:215]
	v_fma_f64 v[95:96], v[198:199], v[95:96], -v[97:98]
	ds_read2st64_b64 v[30:33], v155 offset0:48 offset1:50
	s_waitcnt vmcnt(9) lgkmcnt(3)
	v_mul_f64 v[196:197], v[208:209], v[109:110]
	s_waitcnt vmcnt(8) lgkmcnt(2)
	v_mul_f64 v[220:221], v[210:211], v[117:118]
	v_mul_f64 v[97:98], v[18:19], v[117:118]
	s_waitcnt vmcnt(7)
	v_mul_f64 v[218:219], v[204:205], v[113:114]
	v_mul_f64 v[113:114], v[28:29], v[113:114]
	v_fma_f64 v[117:118], v[24:25], v[99:100], v[216:217]
	v_fma_f64 v[99:100], v[200:201], v[99:100], -v[101:102]
	s_waitcnt vmcnt(6)
	v_mul_f64 v[101:102], v[212:213], v[168:169]
	v_fma_f64 v[26:27], v[26:27], v[103:104], v[93:94]
	ds_read2st64_b64 v[22:25], v155 offset0:56 offset1:58
	v_fma_f64 v[103:104], v[202:203], v[103:104], -v[105:106]
	v_fma_f64 v[93:94], v[4:5], v[107:108], v[196:197]
	v_mul_f64 v[4:5], v[4:5], v[109:110]
	v_fma_f64 v[18:19], v[18:19], v[115:116], v[220:221]
	v_fma_f64 v[97:98], v[210:211], v[115:116], -v[97:98]
	v_fma_f64 v[28:29], v[28:29], v[111:112], v[218:219]
	v_fma_f64 v[105:106], v[204:205], v[111:112], -v[113:114]
	v_mul_f64 v[111:112], v[20:21], v[168:169]
	s_waitcnt vmcnt(5) lgkmcnt(1)
	v_mul_f64 v[113:114], v[30:31], v[172:173]
	v_fma_f64 v[20:21], v[20:21], v[166:167], v[101:102]
	v_mul_f64 v[168:169], v[14:15], v[172:173]
	s_waitcnt vmcnt(4)
	v_mul_f64 v[172:173], v[32:33], v[176:177]
	v_mul_f64 v[176:177], v[16:17], v[176:177]
	s_waitcnt vmcnt(3)
	v_mul_f64 v[196:197], v[87:88], v[180:181]
	;; [unrolled: 3-line block ×3, first 2 shown]
	v_add_f64 v[93:94], v[2:3], -v[93:94]
	s_waitcnt vmcnt(0)
	v_mul_f64 v[101:102], v[8:9], v[192:193]
	v_mul_f64 v[198:199], v[89:90], v[184:185]
	s_waitcnt lgkmcnt(0)
	v_mul_f64 v[184:185], v[22:23], v[188:189]
	v_mul_f64 v[188:189], v[6:7], v[188:189]
	;; [unrolled: 1-line block ×3, first 2 shown]
	v_add_f64 v[117:118], v[60:61], -v[117:118]
	v_add_f64 v[26:27], v[56:57], -v[26:27]
	v_mov_b32_e32 v192, 0x3c0
	v_fma_f64 v[4:5], v[208:209], v[107:108], -v[4:5]
	v_add_f64 v[18:19], v[44:45], -v[18:19]
	v_lshrrev_b32_e32 v220, 22, v76
	v_fma_f64 v[109:110], v[212:213], v[166:167], -v[111:112]
	v_mul_u32_u24_sdwa v111, v222, v192 dst_sel:DWORD dst_unused:UNUSED_PAD src0_sel:WORD_0 src1_sel:DWORD
	v_lshlrev_b32_sdwa v112, v139, v226 dst_sel:DWORD dst_unused:UNUSED_PAD src0_sel:DWORD src1_sel:BYTE_0
	v_fma_f64 v[14:15], v[14:15], v[170:171], v[113:114]
	v_mul_u32_u24_sdwa v47, v47, v192 dst_sel:DWORD dst_unused:UNUSED_PAD src0_sel:WORD_0 src1_sel:DWORD
	v_fma_f64 v[30:31], v[30:31], v[170:171], -v[168:169]
	v_fma_f64 v[16:17], v[16:17], v[174:175], v[172:173]
	v_fma_f64 v[32:33], v[32:33], v[174:175], -v[176:177]
	v_fma_f64 v[89:90], v[89:90], v[182:183], -v[115:116]
	v_fma_f64 v[2:3], v[2:3], 2.0, -v[93:94]
	v_fma_f64 v[24:25], v[24:25], v[190:191], -v[101:102]
	v_add_f64 v[101:102], v[64:65], -v[119:120]
	v_add_f64 v[115:116], v[58:59], -v[149:150]
	;; [unrolled: 1-line block ×3, first 2 shown]
	v_fma_f64 v[6:7], v[6:7], v[186:187], v[184:185]
	v_fma_f64 v[22:23], v[22:23], v[186:187], -v[188:189]
	v_add3_u32 v186, 0, v111, v112
	v_fma_f64 v[10:11], v[10:11], v[178:179], v[196:197]
	v_fma_f64 v[87:88], v[87:88], v[178:179], -v[180:181]
	v_fma_f64 v[12:13], v[12:13], v[182:183], v[198:199]
	ds_read_b64 v[107:108], v131
	ds_read_b64 v[111:112], v137
	;; [unrolled: 1-line block ×14, first 2 shown]
	s_waitcnt lgkmcnt(0)
	s_barrier
	buffer_gl0_inv
	v_add3_u32 v187, 0, v47, v48
	v_fma_f64 v[56:57], v[56:57], 2.0, -v[26:27]
	v_fma_f64 v[8:9], v[8:9], v[190:191], v[200:201]
	v_add_f64 v[20:21], v[50:51], -v[20:21]
	v_add_f64 v[14:15], v[52:53], -v[14:15]
	v_add_f64 v[16:17], v[34:35], -v[16:17]
	ds_write2_b64 v186, v[2:3], v[93:94] offset1:60
	v_add_f64 v[2:3], v[54:55], -v[28:29]
	v_fma_f64 v[64:65], v[64:65], 2.0, -v[101:102]
	v_fma_f64 v[28:29], v[58:59], 2.0, -v[115:116]
	;; [unrolled: 1-line block ×4, first 2 shown]
	v_lshlrev_b32_sdwa v60, v139, v85 dst_sel:DWORD dst_unused:UNUSED_PAD src0_sel:DWORD src1_sel:WORD_0
	v_lshlrev_b32_sdwa v61, v139, v84 dst_sel:DWORD dst_unused:UNUSED_PAD src0_sel:DWORD src1_sel:WORD_0
	v_mul_u32_u24_e32 v62, 0x3c0, v81
	v_lshlrev_b32_sdwa v63, v139, v83 dst_sel:DWORD dst_unused:UNUSED_PAD src0_sel:DWORD src1_sel:WORD_0
	v_mul_u32_u24_e32 v81, 0x3c0, v82
	v_lshlrev_b32_sdwa v82, v139, v86 dst_sel:DWORD dst_unused:UNUSED_PAD src0_sel:DWORD src1_sel:WORD_0
	v_add3_u32 v188, 0, v46, v60
	v_add3_u32 v189, 0, v49, v61
	;; [unrolled: 1-line block ×3, first 2 shown]
	v_add_f64 v[10:11], v[36:37], -v[10:11]
	v_add3_u32 v191, 0, v81, v82
	v_add_f64 v[12:13], v[38:39], -v[12:13]
	v_add_f64 v[81:82], v[107:108], -v[194:195]
	;; [unrolled: 1-line block ×6, first 2 shown]
	v_fma_f64 v[54:55], v[54:55], 2.0, -v[2:3]
	ds_write2_b64 v187, v[64:65], v[101:102] offset1:60
	ds_write2_b64 v188, v[28:29], v[115:116] offset1:60
	;; [unrolled: 1-line block ×5, first 2 shown]
	v_add_f64 v[56:57], v[206:207], -v[4:5]
	v_mul_u32_u24_e32 v46, 0x3c0, v121
	v_lshlrev_b32_sdwa v47, v139, v227 dst_sel:DWORD dst_unused:UNUSED_PAD src0_sel:DWORD src1_sel:WORD_0
	v_fma_f64 v[26:27], v[44:45], 2.0, -v[18:19]
	v_fma_f64 v[28:29], v[50:51], 2.0, -v[20:21]
	;; [unrolled: 1-line block ×3, first 2 shown]
	v_mul_u32_u24_e32 v48, 0x3c0, v224
	v_add3_u32 v121, 0, v46, v47
	v_mul_u32_u24_e32 v46, 0x3c0, v223
	v_lshlrev_b32_sdwa v47, v139, v228 dst_sel:DWORD dst_unused:UNUSED_PAD src0_sel:DWORD src1_sel:WORD_0
	v_fma_f64 v[4:5], v[36:37], 2.0, -v[10:11]
	v_lshlrev_b32_sdwa v49, v139, v229 dst_sel:DWORD dst_unused:UNUSED_PAD src0_sel:DWORD src1_sel:WORD_0
	v_mul_u32_u24_e32 v50, 0x3c0, v225
	v_fma_f64 v[107:108], v[107:108], 2.0, -v[81:82]
	v_fma_f64 v[36:37], v[40:41], 2.0, -v[6:7]
	;; [unrolled: 1-line block ×3, first 2 shown]
	v_lshlrev_b32_sdwa v51, v139, v230 dst_sel:DWORD dst_unused:UNUSED_PAD src0_sel:DWORD src1_sel:WORD_0
	v_fma_f64 v[115:116], v[174:175], 2.0, -v[85:86]
	ds_write2_b64 v121, v[54:55], v[2:3] offset1:60
	v_fma_f64 v[2:3], v[34:35], 2.0, -v[16:17]
	v_fma_f64 v[34:35], v[38:39], 2.0, -v[12:13]
	;; [unrolled: 1-line block ×4, first 2 shown]
	v_add3_u32 v192, 0, v46, v47
	v_add_f64 v[91:92], v[172:173], -v[99:100]
	v_add3_u32 v193, 0, v48, v49
	v_add_f64 v[93:94], v[113:114], -v[103:104]
	v_add_f64 v[95:96], v[149:150], -v[105:106]
	;; [unrolled: 1-line block ×9, first 2 shown]
	v_add3_u32 v196, 0, v50, v51
	v_add_f64 v[109:110], v[184:185], -v[24:25]
	v_mul_u32_u24_e32 v46, 0x3c0, v231
	v_lshlrev_b32_sdwa v47, v139, v236 dst_sel:DWORD dst_unused:UNUSED_PAD src0_sel:DWORD src1_sel:WORD_0
	ds_write2_b64 v192, v[26:27], v[18:19] offset1:60
	ds_write2_b64 v193, v[28:29], v[20:21] offset1:60
	;; [unrolled: 1-line block ×3, first 2 shown]
	v_mul_u32_u24_e32 v14, 0x3c0, v232
	v_lshlrev_b32_sdwa v15, v139, v237 dst_sel:DWORD dst_unused:UNUSED_PAD src0_sel:DWORD src1_sel:WORD_0
	v_mul_u32_u24_e32 v18, 0x3c0, v233
	v_lshlrev_b32_sdwa v19, v139, v238 dst_sel:DWORD dst_unused:UNUSED_PAD src0_sel:DWORD src1_sel:WORD_0
	;; [unrolled: 2-line block ×4, first 2 shown]
	v_add3_u32 v197, 0, v46, v47
	v_add3_u32 v198, 0, v14, v15
	;; [unrolled: 1-line block ×5, first 2 shown]
	ds_write2_b64 v197, v[2:3], v[16:17] offset1:60
	ds_write2_b64 v198, v[4:5], v[10:11] offset1:60
	;; [unrolled: 1-line block ×5, first 2 shown]
	s_waitcnt lgkmcnt(0)
	s_barrier
	buffer_gl0_inv
	ds_read_b64 v[60:61], v131
	ds_read_b64 v[52:53], v137
	;; [unrolled: 1-line block ×14, first 2 shown]
	ds_read2st64_b64 v[2:5], v155 offset1:30
	ds_read2st64_b64 v[30:33], v155 offset0:32 offset1:34
	ds_read2st64_b64 v[26:29], v155 offset0:36 offset1:38
	;; [unrolled: 1-line block ×7, first 2 shown]
	s_waitcnt lgkmcnt(0)
	s_barrier
	buffer_gl0_inv
	ds_write2_b64 v186, v[64:65], v[56:57] offset1:60
	ds_write2_b64 v187, v[107:108], v[81:82] offset1:60
	;; [unrolled: 1-line block ×4, first 2 shown]
	v_lshrrev_b16 v64, 14, v67
	v_lshrrev_b32_e32 v65, 22, v66
	v_fma_f64 v[117:118], v[172:173], 2.0, -v[91:92]
	v_fma_f64 v[113:114], v[113:114], 2.0, -v[93:94]
	;; [unrolled: 1-line block ×3, first 2 shown]
	v_mul_lo_u16 v56, 0x78, v64
	v_fma_f64 v[149:150], v[166:167], 2.0, -v[97:98]
	v_fma_f64 v[166:167], v[168:169], 2.0, -v[99:100]
	;; [unrolled: 1-line block ×8, first 2 shown]
	v_sub_nc_u16 v66, v126, v56
	v_mul_lo_u16 v56, 0x78, v65
	v_lshrrev_b32_e32 v67, 22, v80
	v_lshrrev_b32_e32 v82, 22, v79
	v_lshrrev_b32_e32 v83, 22, v77
	v_lshlrev_b32_sdwa v57, v68, v66 dst_sel:DWORD dst_unused:UNUSED_PAD src0_sel:DWORD src1_sel:BYTE_0
	v_sub_nc_u16 v81, v128, v56
	v_mul_lo_u16 v56, 0x78, v67
	ds_write2_b64 v190, v[117:118], v[91:92] offset1:60
	ds_write2_b64 v191, v[113:114], v[93:94] offset1:60
	;; [unrolled: 1-line block ×4, first 2 shown]
	v_sub_nc_u16 v85, v147, v56
	v_mul_lo_u16 v56, 0x78, v82
	v_lshrrev_b32_e32 v121, 22, v78
	ds_write2_b64 v193, v[166:167], v[99:100] offset1:60
	ds_write2_b64 v196, v[168:169], v[101:102] offset1:60
	;; [unrolled: 1-line block ×3, first 2 shown]
	v_mul_lo_u16 v84, 0x78, v83
	v_sub_nc_u16 v86, v145, v56
	v_add_nc_u32_e32 v56, 0xffffff88, v0
	ds_write2_b64 v198, v[172:173], v[87:88] offset1:60
	ds_write2_b64 v199, v[174:175], v[89:90] offset1:60
	;; [unrolled: 1-line block ×4, first 2 shown]
	s_waitcnt lgkmcnt(0)
	s_barrier
	buffer_gl0_inv
	global_load_dwordx4 v[87:90], v57, s[12:13] offset:1760
	v_cndmask_b32_e64 v56, v56, v0, s0
	v_mov_b32_e32 v57, 0
	v_mul_lo_u16 v109, 0x78, v121
	v_lshlrev_b32_sdwa v91, v68, v81 dst_sel:DWORD dst_unused:UNUSED_PAD src0_sel:DWORD src1_sel:WORD_0
	v_lshlrev_b32_sdwa v95, v68, v85 dst_sel:DWORD dst_unused:UNUSED_PAD src0_sel:DWORD src1_sel:WORD_0
	v_sub_nc_u16 v84, v143, v84
	v_lshlrev_b64 v[107:108], 4, v[56:57]
	v_sub_nc_u16 v221, v141, v109
	s_clause 0x1
	global_load_dwordx4 v[91:94], v91, s[12:13] offset:1760
	global_load_dwordx4 v[95:98], v95, s[12:13] offset:1760
	v_lshlrev_b32_sdwa v99, v68, v86 dst_sel:DWORD dst_unused:UNUSED_PAD src0_sel:DWORD src1_sel:WORD_0
	v_lshlrev_b32_sdwa v103, v68, v84 dst_sel:DWORD dst_unused:UNUSED_PAD src0_sel:DWORD src1_sel:WORD_0
	v_mul_lo_u16 v109, 0x78, v220
	v_add_co_u32 v107, s0, s12, v107
	v_add_co_ci_u32_e64 v108, s0, s13, v108, s0
	v_lshlrev_b32_sdwa v111, v68, v221 dst_sel:DWORD dst_unused:UNUSED_PAD src0_sel:DWORD src1_sel:WORD_0
	s_clause 0x1
	global_load_dwordx4 v[99:102], v99, s[12:13] offset:1760
	global_load_dwordx4 v[103:106], v103, s[12:13] offset:1760
	v_sub_nc_u16 v224, v130, v109
	s_clause 0x1
	global_load_dwordx4 v[107:110], v[107:108], off offset:1760
	global_load_dwordx4 v[111:114], v111, s[12:13] offset:1760
	v_lshrrev_b32_e32 v222, 22, v75
	v_lshrrev_b32_e32 v223, 22, v74
	v_lshlrev_b32_sdwa v117, v68, v224 dst_sel:DWORD dst_unused:UNUSED_PAD src0_sel:DWORD src1_sel:WORD_0
	v_lshrrev_b32_e32 v227, 22, v73
	v_lshrrev_b32_e32 v228, 22, v72
	v_mul_lo_u16 v115, 0x78, v222
	v_mul_lo_u16 v116, 0x78, v223
	v_lshrrev_b32_e32 v229, 22, v71
	v_lshrrev_b32_e32 v230, 22, v70
	v_mul_lo_u16 v149, 0x78, v227
	v_sub_nc_u16 v225, v132, v115
	v_sub_nc_u16 v226, v133, v116
	global_load_dwordx4 v[115:118], v117, s[12:13] offset:1760
	v_mul_lo_u16 v150, 0x78, v230
	v_sub_nc_u16 v231, v134, v149
	v_lshlrev_b32_sdwa v119, v68, v225 dst_sel:DWORD dst_unused:UNUSED_PAD src0_sel:DWORD src1_sel:WORD_0
	v_lshlrev_b32_sdwa v120, v68, v226 dst_sel:DWORD dst_unused:UNUSED_PAD src0_sel:DWORD src1_sel:WORD_0
	s_clause 0x1
	global_load_dwordx4 v[166:169], v119, s[12:13] offset:1760
	global_load_dwordx4 v[170:173], v120, s[12:13] offset:1760
	v_mul_lo_u16 v119, 0x78, v228
	v_mul_lo_u16 v120, 0x78, v229
	v_sub_nc_u16 v235, v138, v150
	v_lshrrev_b32_e32 v232, 22, v69
	v_cmp_lt_u32_e64 s0, 0x77, v0
	v_sub_nc_u16 v233, v135, v119
	v_sub_nc_u16 v234, v136, v120
	v_lshlrev_b32_sdwa v119, v68, v231 dst_sel:DWORD dst_unused:UNUSED_PAD src0_sel:DWORD src1_sel:WORD_0
	v_lshlrev_b32_sdwa v186, v68, v235 dst_sel:DWORD dst_unused:UNUSED_PAD src0_sel:DWORD src1_sel:WORD_0
	v_mul_lo_u16 v120, 0x78, v232
	v_lshlrev_b32_sdwa v149, v68, v233 dst_sel:DWORD dst_unused:UNUSED_PAD src0_sel:DWORD src1_sel:WORD_0
	v_lshlrev_b32_sdwa v150, v68, v234 dst_sel:DWORD dst_unused:UNUSED_PAD src0_sel:DWORD src1_sel:WORD_0
	s_clause 0x3
	global_load_dwordx4 v[174:177], v119, s[12:13] offset:1760
	global_load_dwordx4 v[178:181], v149, s[12:13] offset:1760
	;; [unrolled: 1-line block ×4, first 2 shown]
	v_sub_nc_u16 v236, v140, v120
	v_lshlrev_b32_sdwa v66, v139, v66 dst_sel:DWORD dst_unused:UNUSED_PAD src0_sel:DWORD src1_sel:BYTE_0
	v_lshrrev_b32_e32 v80, 23, v80
	v_lshrrev_b32_e32 v79, 23, v79
	;; [unrolled: 1-line block ×3, first 2 shown]
	v_lshlrev_b32_sdwa v119, v68, v236 dst_sel:DWORD dst_unused:UNUSED_PAD src0_sel:DWORD src1_sel:WORD_0
	v_lshrrev_b32_e32 v78, 23, v78
	global_load_dwordx4 v[190:193], v119, s[12:13] offset:1760
	ds_read2st64_b64 v[194:197], v155 offset0:32 offset1:34
	ds_read2st64_b64 v[198:201], v155 offset0:36 offset1:38
	;; [unrolled: 1-line block ×3, first 2 shown]
	ds_read2st64_b64 v[206:209], v155 offset1:30
	v_mul_lo_u16 v78, 0xf0, v78
	v_sub_nc_u16 v78, v141, v78
	v_and_b32_e32 v78, 0xffff, v78
	s_waitcnt vmcnt(14) lgkmcnt(3)
	v_mul_f64 v[119:120], v[194:195], v[89:90]
	v_mul_f64 v[89:90], v[30:31], v[89:90]
	s_waitcnt vmcnt(13)
	v_mul_f64 v[149:150], v[196:197], v[93:94]
	v_mul_f64 v[93:94], v[32:33], v[93:94]
	s_waitcnt vmcnt(12) lgkmcnt(2)
	v_mul_f64 v[210:211], v[198:199], v[97:98]
	v_mul_f64 v[97:98], v[26:27], v[97:98]
	s_waitcnt vmcnt(11)
	v_mul_f64 v[212:213], v[200:201], v[101:102]
	v_mul_f64 v[101:102], v[28:29], v[101:102]
	s_waitcnt vmcnt(10) lgkmcnt(1)
	v_mul_f64 v[214:215], v[202:203], v[105:106]
	s_waitcnt vmcnt(9) lgkmcnt(0)
	v_mul_f64 v[216:217], v[208:209], v[109:110]
	v_mul_f64 v[105:106], v[22:23], v[105:106]
	v_fma_f64 v[119:120], v[30:31], v[87:88], v[119:120]
	v_fma_f64 v[194:195], v[194:195], v[87:88], -v[89:90]
	s_waitcnt vmcnt(8)
	v_mul_f64 v[218:219], v[204:205], v[113:114]
	v_mul_f64 v[113:114], v[24:25], v[113:114]
	v_fma_f64 v[149:150], v[32:33], v[91:92], v[149:150]
	ds_read2st64_b64 v[30:33], v155 offset0:44 offset1:46
	v_fma_f64 v[196:197], v[196:197], v[91:92], -v[93:94]
	ds_read2st64_b64 v[87:90], v155 offset0:48 offset1:50
	ds_read2st64_b64 v[91:94], v155 offset0:52 offset1:54
	v_fma_f64 v[210:211], v[26:27], v[95:96], v[210:211]
	v_fma_f64 v[95:96], v[198:199], v[95:96], -v[97:98]
	v_fma_f64 v[97:98], v[28:29], v[99:100], v[212:213]
	ds_read2st64_b64 v[26:29], v155 offset0:56 offset1:58
	v_fma_f64 v[99:100], v[200:201], v[99:100], -v[101:102]
	v_fma_f64 v[101:102], v[4:5], v[107:108], v[216:217]
	v_fma_f64 v[22:23], v[22:23], v[103:104], v[214:215]
	v_fma_f64 v[103:104], v[202:203], v[103:104], -v[105:106]
	v_mul_f64 v[4:5], v[4:5], v[109:110]
	v_fma_f64 v[24:25], v[24:25], v[111:112], v[218:219]
	v_fma_f64 v[105:106], v[204:205], v[111:112], -v[113:114]
	s_waitcnt vmcnt(6)
	v_mul_f64 v[113:114], v[16:17], v[168:169]
	s_waitcnt lgkmcnt(3)
	v_mul_f64 v[198:199], v[30:31], v[117:118]
	v_mul_f64 v[117:118], v[14:15], v[117:118]
	;; [unrolled: 1-line block ×3, first 2 shown]
	s_waitcnt vmcnt(5) lgkmcnt(2)
	v_mul_f64 v[168:169], v[87:88], v[172:173]
	v_mul_f64 v[172:173], v[18:19], v[172:173]
	s_waitcnt vmcnt(4)
	v_mul_f64 v[200:201], v[89:90], v[176:177]
	v_mul_f64 v[176:177], v[20:21], v[176:177]
	s_waitcnt vmcnt(3) lgkmcnt(1)
	v_mul_f64 v[202:203], v[91:92], v[180:181]
	v_mul_f64 v[180:181], v[10:11], v[180:181]
	s_waitcnt vmcnt(1) lgkmcnt(0)
	v_mul_f64 v[212:213], v[26:27], v[188:189]
	v_mul_f64 v[188:189], v[6:7], v[188:189]
	v_mul_f64 v[204:205], v[93:94], v[184:185]
	v_mul_f64 v[184:185], v[12:13], v[184:185]
	v_add_f64 v[101:102], v[2:3], -v[101:102]
	v_add_f64 v[97:98], v[58:59], -v[97:98]
	;; [unrolled: 1-line block ×3, first 2 shown]
	v_fma_f64 v[4:5], v[208:209], v[107:108], -v[4:5]
	v_fma_f64 v[32:33], v[32:33], v[166:167], -v[113:114]
	v_fma_f64 v[14:15], v[14:15], v[115:116], v[198:199]
	v_fma_f64 v[30:31], v[30:31], v[115:116], -v[117:118]
	s_waitcnt vmcnt(0)
	v_mul_f64 v[117:118], v[8:9], v[192:193]
	v_mul_f64 v[115:116], v[28:29], v[192:193]
	v_fma_f64 v[16:17], v[16:17], v[166:167], v[111:112]
	v_fma_f64 v[18:19], v[18:19], v[170:171], v[168:169]
	v_fma_f64 v[87:88], v[87:88], v[170:171], -v[172:173]
	v_fma_f64 v[20:21], v[20:21], v[174:175], v[200:201]
	v_fma_f64 v[89:90], v[89:90], v[174:175], -v[176:177]
	;; [unrolled: 2-line block ×3, first 2 shown]
	v_cndmask_b32_e64 v26, 0, 0x780, s0
	v_lshlrev_b32_e32 v27, 3, v56
	v_fma_f64 v[2:3], v[2:3], 2.0, -v[101:102]
	v_fma_f64 v[91:92], v[91:92], v[178:179], -v[180:181]
	v_fma_f64 v[12:13], v[12:13], v[182:183], v[204:205]
	v_fma_f64 v[93:94], v[93:94], v[182:183], -v[184:185]
	v_add3_u32 v56, 0, v26, v27
	v_add_f64 v[26:27], v[60:61], -v[119:120]
	v_fma_f64 v[6:7], v[6:7], v[186:187], v[212:213]
	v_mov_b32_e32 v184, 0x780
	v_fma_f64 v[58:59], v[58:59], 2.0, -v[97:98]
	v_add_f64 v[14:15], v[36:37], -v[14:15]
	v_fma_f64 v[54:55], v[54:55], 2.0, -v[22:23]
	v_fma_f64 v[111:112], v[28:29], v[190:191], -v[117:118]
	v_add_f64 v[28:29], v[52:53], -v[149:150]
	v_add_f64 v[117:118], v[62:63], -v[210:211]
	v_fma_f64 v[8:9], v[8:9], v[190:191], v[115:116]
	ds_read_b64 v[107:108], v131
	ds_read_b64 v[113:114], v137
	;; [unrolled: 1-line block ×14, first 2 shown]
	s_waitcnt lgkmcnt(0)
	s_barrier
	buffer_gl0_inv
	v_mul_u32_u24_sdwa v64, v64, v184 dst_sel:DWORD dst_unused:UNUSED_PAD src0_sel:WORD_0 src1_sel:DWORD
	ds_write2_b64 v56, v[2:3], v[101:102] offset1:120
	v_add_f64 v[2:3], v[42:43], -v[24:25]
	v_add_f64 v[16:17], v[38:39], -v[16:17]
	;; [unrolled: 1-line block ×3, first 2 shown]
	v_add3_u32 v184, 0, v64, v66
	v_fma_f64 v[60:61], v[60:61], 2.0, -v[26:27]
	v_add_f64 v[20:21], v[34:35], -v[20:21]
	v_add_f64 v[10:11], v[44:45], -v[10:11]
	;; [unrolled: 1-line block ×3, first 2 shown]
	v_mul_u32_u24_e32 v64, 0x780, v67
	v_add_f64 v[6:7], v[48:49], -v[6:7]
	v_mul_u32_u24_e32 v66, 0x780, v82
	v_fma_f64 v[24:25], v[52:53], 2.0, -v[28:29]
	v_fma_f64 v[52:53], v[62:63], 2.0, -v[117:118]
	v_mul_u32_u24_e32 v62, 0x780, v65
	v_lshlrev_b32_sdwa v63, v139, v81 dst_sel:DWORD dst_unused:UNUSED_PAD src0_sel:DWORD src1_sel:WORD_0
	v_lshlrev_b32_sdwa v65, v139, v85 dst_sel:DWORD dst_unused:UNUSED_PAD src0_sel:DWORD src1_sel:WORD_0
	;; [unrolled: 1-line block ×3, first 2 shown]
	v_add_f64 v[8:9], v[50:51], -v[8:9]
	v_mul_u32_u24_e32 v81, 0x780, v83
	v_lshlrev_b32_sdwa v82, v139, v84 dst_sel:DWORD dst_unused:UNUSED_PAD src0_sel:DWORD src1_sel:WORD_0
	v_add3_u32 v185, 0, v62, v63
	v_add3_u32 v186, 0, v64, v65
	;; [unrolled: 1-line block ×3, first 2 shown]
	v_add_f64 v[83:84], v[113:114], -v[196:197]
	v_add3_u32 v188, 0, v81, v82
	v_add_f64 v[85:86], v[172:173], -v[95:96]
	ds_write2_b64 v184, v[60:61], v[26:27] offset1:120
	v_fma_f64 v[26:27], v[42:43], 2.0, -v[2:3]
	v_mul_u32_u24_e32 v42, 0x780, v121
	v_lshlrev_b32_sdwa v43, v139, v221 dst_sel:DWORD dst_unused:UNUSED_PAD src0_sel:DWORD src1_sel:WORD_0
	v_add_f64 v[95:96], v[170:171], -v[99:100]
	v_add_f64 v[99:100], v[119:120], -v[105:106]
	;; [unrolled: 1-line block ×3, first 2 shown]
	ds_write2_b64 v185, v[24:25], v[28:29] offset1:120
	ds_write2_b64 v186, v[52:53], v[117:118] offset1:120
	;; [unrolled: 1-line block ×4, first 2 shown]
	v_fma_f64 v[22:23], v[36:37], 2.0, -v[14:15]
	v_fma_f64 v[24:25], v[38:39], 2.0, -v[16:17]
	;; [unrolled: 1-line block ×3, first 2 shown]
	v_add3_u32 v121, 0, v42, v43
	v_mul_u32_u24_e32 v36, 0x780, v220
	v_lshlrev_b32_sdwa v37, v139, v224 dst_sel:DWORD dst_unused:UNUSED_PAD src0_sel:DWORD src1_sel:WORD_0
	v_mul_u32_u24_e32 v38, 0x780, v222
	v_lshlrev_b32_sdwa v39, v139, v225 dst_sel:DWORD dst_unused:UNUSED_PAD src0_sel:DWORD src1_sel:WORD_0
	v_mul_u32_u24_e32 v40, 0x780, v223
	v_lshlrev_b32_sdwa v41, v139, v226 dst_sel:DWORD dst_unused:UNUSED_PAD src0_sel:DWORD src1_sel:WORD_0
	v_add3_u32 v189, 0, v36, v37
	v_fma_f64 v[36:37], v[48:49], 2.0, -v[6:7]
	v_add3_u32 v190, 0, v38, v39
	v_fma_f64 v[38:39], v[50:51], 2.0, -v[8:9]
	ds_write2_b64 v121, v[26:27], v[2:3] offset1:120
	v_fma_f64 v[2:3], v[34:35], 2.0, -v[20:21]
	v_add_f64 v[34:35], v[206:207], -v[4:5]
	v_fma_f64 v[4:5], v[44:45], 2.0, -v[10:11]
	v_fma_f64 v[26:27], v[46:47], 2.0, -v[12:13]
	v_add3_u32 v191, 0, v40, v41
	v_mul_u32_u24_e32 v40, 0x780, v227
	v_lshlrev_b32_sdwa v41, v139, v231 dst_sel:DWORD dst_unused:UNUSED_PAD src0_sel:DWORD src1_sel:WORD_0
	ds_write2_b64 v189, v[22:23], v[14:15] offset1:120
	ds_write2_b64 v190, v[24:25], v[16:17] offset1:120
	ds_write2_b64 v191, v[28:29], v[18:19] offset1:120
	v_mul_u32_u24_e32 v14, 0x780, v228
	v_lshlrev_b32_sdwa v15, v139, v233 dst_sel:DWORD dst_unused:UNUSED_PAD src0_sel:DWORD src1_sel:WORD_0
	v_mul_u32_u24_e32 v16, 0x780, v229
	v_lshlrev_b32_sdwa v17, v139, v234 dst_sel:DWORD dst_unused:UNUSED_PAD src0_sel:DWORD src1_sel:WORD_0
	;; [unrolled: 2-line block ×4, first 2 shown]
	v_add3_u32 v192, 0, v40, v41
	v_add3_u32 v193, 0, v14, v15
	;; [unrolled: 1-line block ×5, first 2 shown]
	v_add_f64 v[97:98], v[115:116], -v[103:104]
	ds_write2_b64 v192, v[2:3], v[20:21] offset1:120
	ds_write2_b64 v193, v[4:5], v[10:11] offset1:120
	;; [unrolled: 1-line block ×5, first 2 shown]
	v_add_f64 v[36:37], v[107:108], -v[194:195]
	v_fma_f64 v[81:82], v[206:207], 2.0, -v[34:35]
	v_add_f64 v[105:106], v[180:181], -v[109:110]
	v_add_f64 v[89:90], v[174:175], -v[89:90]
	;; [unrolled: 1-line block ×7, first 2 shown]
	v_fma_f64 v[109:110], v[113:114], 2.0, -v[83:84]
	s_waitcnt lgkmcnt(0)
	s_barrier
	buffer_gl0_inv
	ds_read_b64 v[60:61], v131
	ds_read_b64 v[62:63], v137
	;; [unrolled: 1-line block ×14, first 2 shown]
	ds_read2st64_b64 v[2:5], v155 offset1:30
	ds_read2st64_b64 v[30:33], v155 offset0:32 offset1:34
	ds_read2st64_b64 v[26:29], v155 offset0:36 offset1:38
	;; [unrolled: 1-line block ×4, first 2 shown]
	v_fma_f64 v[113:114], v[172:173], 2.0, -v[85:86]
	v_fma_f64 v[117:118], v[170:171], 2.0, -v[95:96]
	ds_read2st64_b64 v[18:21], v155 offset0:48 offset1:50
	ds_read2st64_b64 v[6:9], v155 offset0:52 offset1:54
	v_fma_f64 v[115:116], v[115:116], 2.0, -v[97:98]
	v_fma_f64 v[107:108], v[107:108], 2.0, -v[36:37]
	ds_read2st64_b64 v[10:13], v155 offset0:56 offset1:58
	v_fma_f64 v[168:169], v[168:169], 2.0, -v[87:88]
	s_waitcnt lgkmcnt(0)
	s_barrier
	buffer_gl0_inv
	ds_write2_b64 v56, v[81:82], v[34:35] offset1:120
	v_fma_f64 v[34:35], v[180:181], 2.0, -v[105:106]
	v_fma_f64 v[119:120], v[119:120], 2.0, -v[99:100]
	;; [unrolled: 1-line block ×5, first 2 shown]
	ds_write2_b64 v184, v[107:108], v[36:37] offset1:120
	ds_write2_b64 v185, v[109:110], v[83:84] offset1:120
	v_fma_f64 v[36:37], v[182:183], 2.0, -v[111:112]
	v_fma_f64 v[166:167], v[166:167], 2.0, -v[103:104]
	;; [unrolled: 1-line block ×3, first 2 shown]
	v_add_nc_u32_e32 v56, 0xffffff90, v0
	v_cmp_gt_u32_e64 s0, 0xf0, v126
	ds_write2_b64 v186, v[113:114], v[85:86] offset1:120
	ds_write2_b64 v187, v[117:118], v[95:96] offset1:120
	;; [unrolled: 1-line block ×6, first 2 shown]
	v_cndmask_b32_e64 v56, v56, v126, s0
	ds_write2_b64 v191, v[168:169], v[87:88] offset1:120
	ds_write2_b64 v192, v[170:171], v[89:90] offset1:120
	;; [unrolled: 1-line block ×5, first 2 shown]
	v_lshlrev_b64 v[34:35], 4, v[0:1]
	v_mul_lo_u16 v1, 0xf0, v80
	v_lshlrev_b64 v[81:82], 4, v[56:57]
	ds_write2_b64 v200, v[36:37], v[111:112] offset1:120
	v_mul_lo_u16 v36, 0xf0, v79
	s_waitcnt lgkmcnt(0)
	v_sub_nc_u16 v79, v147, v1
	s_barrier
	v_add_co_u32 v81, s0, s12, v81
	v_add_co_ci_u32_e64 v82, s0, s13, v82, s0
	v_sub_nc_u16 v1, v145, v36
	v_add_co_u32 v83, s0, 0x800, v81
	v_add_co_ci_u32_e64 v84, s0, 0, v82, s0
	v_add_co_u32 v86, s0, s12, v34
	v_add_co_ci_u32_e64 v87, s0, s13, v35, s0
	v_lshlrev_b32_sdwa v81, v68, v79 dst_sel:DWORD dst_unused:UNUSED_PAD src0_sel:DWORD src1_sel:WORD_0
	v_add_co_u32 v149, s0, 0x800, v86
	v_and_b32_e32 v1, 0xffff, v1
	v_add_co_ci_u32_e64 v150, s0, 0, v87, s0
	v_add_co_u32 v85, s0, s12, v81
	v_mul_lo_u16 v81, 0xf0, v77
	v_lshlrev_b32_e32 v82, 4, v1
	v_add_co_ci_u32_e64 v89, null, s13, 0, s0
	buffer_gl0_inv
	v_sub_nc_u16 v81, v143, v81
	v_add_co_u32 v82, s0, s12, v82
	v_add_co_ci_u32_e64 v90, null, s13, 0, s0
	v_add_co_u32 v88, s0, 0x800, v85
	v_lshlrev_b32_sdwa v85, v68, v81 dst_sel:DWORD dst_unused:UNUSED_PAD src0_sel:DWORD src1_sel:WORD_0
	v_add_co_ci_u32_e64 v89, s0, 0, v89, s0
	v_add_co_u32 v98, s0, 0x800, v82
	v_add_co_ci_u32_e64 v99, s0, 0, v90, s0
	v_add_co_u32 v85, s0, s12, v85
	v_lshrrev_b32_e32 v82, 23, v76
	v_add_co_ci_u32_e64 v90, null, s13, 0, s0
	v_add_co_u32 v102, s0, 0x800, v85
	v_mul_lo_u16 v85, 0xf0, v82
	global_load_dwordx4 v[34:37], v[149:150], off offset:1888
	v_add_co_ci_u32_e64 v103, s0, 0, v90, s0
	s_clause 0x1
	global_load_dwordx4 v[90:93], v[83:84], off offset:1632
	global_load_dwordx4 v[94:97], v[88:89], off offset:1632
	v_lshlrev_b32_e32 v84, 4, v78
	v_sub_nc_u16 v83, v130, v85
	v_lshrrev_b32_e32 v85, 23, v75
	v_lshrrev_b32_e32 v114, 23, v73
	s_clause 0x1
	global_load_dwordx4 v[98:101], v[98:99], off offset:1632
	global_load_dwordx4 v[102:105], v[102:103], off offset:1632
	v_add_co_u32 v84, s0, s12, v84
	v_add_co_ci_u32_e64 v89, null, s13, 0, s0
	v_lshlrev_b32_sdwa v106, v68, v83 dst_sel:DWORD dst_unused:UNUSED_PAD src0_sel:DWORD src1_sel:WORD_0
	v_mul_lo_u16 v85, 0xf0, v85
	v_add_co_u32 v88, s0, 0x800, v84
	v_add_co_ci_u32_e64 v89, s0, 0, v89, s0
	v_sub_nc_u16 v84, v132, v85
	v_add_co_u32 v106, s0, s12, v106
	v_add_co_ci_u32_e64 v107, null, s13, 0, s0
	v_lshrrev_b32_e32 v85, 23, v74
	v_and_b32_e32 v84, 0xffff, v84
	v_add_co_u32 v110, s0, 0x800, v106
	v_add_co_ci_u32_e64 v111, s0, 0, v107, s0
	v_mul_lo_u16 v115, 0xf0, v85
	v_lshlrev_b32_e32 v116, 4, v84
	s_clause 0x1
	global_load_dwordx4 v[106:109], v[88:89], off offset:1632
	global_load_dwordx4 v[110:113], v[110:111], off offset:1632
	v_mul_lo_u16 v88, 0xf0, v114
	v_lshrrev_b32_e32 v226, 23, v72
	v_sub_nc_u16 v89, v133, v115
	v_add_co_u32 v114, s0, s12, v116
	v_sub_nc_u16 v88, v134, v88
	v_add_co_ci_u32_e64 v115, null, s13, 0, s0
	v_lshlrev_b32_sdwa v116, v68, v89 dst_sel:DWORD dst_unused:UNUSED_PAD src0_sel:DWORD src1_sel:WORD_0
	v_add_co_u32 v114, s0, 0x800, v114
	v_and_b32_e32 v88, 0xffff, v88
	v_add_co_ci_u32_e64 v115, s0, 0, v115, s0
	v_add_co_u32 v116, s0, s12, v116
	v_mul_lo_u16 v121, 0xf0, v226
	v_add_co_ci_u32_e64 v117, null, s13, 0, s0
	v_lshlrev_b32_e32 v120, 4, v88
	v_add_co_u32 v118, s0, 0x800, v116
	v_lshrrev_b32_e32 v166, 23, v71
	v_sub_nc_u16 v227, v135, v121
	v_add_co_ci_u32_e64 v119, s0, 0, v117, s0
	v_add_co_u32 v167, s0, s12, v120
	v_add_co_ci_u32_e64 v168, null, s13, 0, s0
	v_mul_lo_u16 v166, 0xf0, v166
	v_lshlrev_b32_sdwa v169, v68, v227 dst_sel:DWORD dst_unused:UNUSED_PAD src0_sel:DWORD src1_sel:WORD_0
	v_add_co_u32 v170, s0, 0x800, v167
	v_add_co_ci_u32_e64 v171, s0, 0, v168, s0
	v_sub_nc_u16 v166, v136, v166
	v_add_co_u32 v172, s0, s12, v169
	v_lshrrev_b32_e32 v174, 23, v69
	v_add_co_ci_u32_e64 v173, null, s13, 0, s0
	v_lshrrev_b32_e32 v229, 23, v70
	v_and_b32_e32 v228, 0xffff, v166
	s_clause 0x2
	global_load_dwordx4 v[114:117], v[114:115], off offset:1632
	global_load_dwordx4 v[118:121], v[118:119], off offset:1632
	;; [unrolled: 1-line block ×3, first 2 shown]
	v_add_co_u32 v149, s0, 0x800, v172
	v_mul_lo_u16 v179, 0xf0, v174
	v_add_co_ci_u32_e64 v150, s0, 0, v173, s0
	v_mul_lo_u16 v178, 0xf0, v229
	v_lshlrev_b32_e32 v180, 4, v228
	s_clause 0x1
	global_load_dwordx4 v[170:173], v[170:171], off offset:1632
	global_load_dwordx4 v[174:177], v[149:150], off offset:1632
	v_sub_nc_u16 v149, v140, v179
	v_lshlrev_b32_e32 v56, 3, v56
	v_sub_nc_u16 v230, v138, v178
	v_add_co_u32 v150, s0, s12, v180
	v_add_co_ci_u32_e64 v178, null, s13, 0, s0
	v_and_b32_e32 v231, 0xffff, v149
	v_lshlrev_b32_sdwa v179, v68, v230 dst_sel:DWORD dst_unused:UNUSED_PAD src0_sel:DWORD src1_sel:WORD_0
	v_add_co_u32 v149, s0, 0x800, v150
	v_add_co_ci_u32_e64 v150, s0, 0, v178, s0
	v_lshlrev_b32_e32 v178, 4, v231
	v_add_co_u32 v179, s0, s12, v179
	v_add_co_ci_u32_e64 v180, null, s13, 0, s0
	v_add_co_u32 v178, s0, s12, v178
	v_add_co_ci_u32_e64 v181, null, s13, 0, s0
	v_add_co_u32 v182, s0, 0x800, v179
	v_add_co_ci_u32_e64 v183, s0, 0, v180, s0
	v_add_co_u32 v186, s0, 0x800, v178
	v_add_co_ci_u32_e64 v187, s0, 0, v181, s0
	s_clause 0x2
	global_load_dwordx4 v[178:181], v[149:150], off offset:1632
	global_load_dwordx4 v[182:185], v[182:183], off offset:1632
	;; [unrolled: 1-line block ×3, first 2 shown]
	ds_read2st64_b64 v[190:193], v155 offset0:32 offset1:34
	ds_read2st64_b64 v[194:197], v155 offset0:36 offset1:38
	ds_read2st64_b64 v[198:201], v155 offset1:30
	ds_read2st64_b64 v[202:205], v155 offset0:40 offset1:42
	ds_read2st64_b64 v[206:209], v155 offset0:44 offset1:46
	;; [unrolled: 1-line block ×3, first 2 shown]
	v_cmp_lt_u32_e64 s0, 0xef, v126
	v_lshlrev_b32_sdwa v79, v139, v79 dst_sel:DWORD dst_unused:UNUSED_PAD src0_sel:DWORD src1_sel:WORD_0
	v_lshl_add_u32 v1, v1, 3, 0
	v_lshrrev_b32_e32 v74, 24, v74
	v_lshrrev_b32_e32 v73, 24, v73
	;; [unrolled: 1-line block ×3, first 2 shown]
	v_mul_lo_u16 v74, 0x1e0, v74
	v_mul_lo_u16 v70, 0x1e0, v70
	v_sub_nc_u16 v74, v133, v74
	v_sub_nc_u16 v70, v138, v70
	s_waitcnt vmcnt(14) lgkmcnt(5)
	v_mul_f64 v[214:215], v[192:193], v[36:37]
	v_mul_f64 v[36:37], v[32:33], v[36:37]
	s_waitcnt vmcnt(13)
	v_mul_f64 v[149:150], v[190:191], v[92:93]
	v_mul_f64 v[92:93], v[30:31], v[92:93]
	s_waitcnt vmcnt(12) lgkmcnt(4)
	v_mul_f64 v[216:217], v[194:195], v[96:97]
	v_mul_f64 v[96:97], v[26:27], v[96:97]
	s_waitcnt vmcnt(11)
	v_mul_f64 v[218:219], v[196:197], v[100:101]
	v_mul_f64 v[100:101], v[28:29], v[100:101]
	s_waitcnt vmcnt(10) lgkmcnt(2)
	v_mul_f64 v[222:223], v[202:203], v[104:105]
	v_mul_f64 v[104:105], v[22:23], v[104:105]
	v_fma_f64 v[149:150], v[30:31], v[90:91], v[149:150]
	v_fma_f64 v[90:91], v[190:191], v[90:91], -v[92:93]
	v_fma_f64 v[92:93], v[32:33], v[34:35], v[214:215]
	ds_read2st64_b64 v[30:33], v155 offset0:52 offset1:54
	v_fma_f64 v[190:191], v[192:193], v[34:35], -v[36:37]
	ds_read2st64_b64 v[34:37], v155 offset0:56 offset1:58
	v_fma_f64 v[26:27], v[26:27], v[94:95], v[216:217]
	s_waitcnt vmcnt(9)
	v_mul_f64 v[224:225], v[204:205], v[108:109]
	v_fma_f64 v[94:95], v[194:195], v[94:95], -v[96:97]
	v_fma_f64 v[28:29], v[28:29], v[98:99], v[218:219]
	v_fma_f64 v[96:97], v[196:197], v[98:99], -v[100:101]
	v_mul_f64 v[98:99], v[24:25], v[108:109]
	v_fma_f64 v[22:23], v[22:23], v[102:103], v[222:223]
	v_fma_f64 v[102:103], v[202:203], v[102:103], -v[104:105]
	s_waitcnt vmcnt(8) lgkmcnt(3)
	v_mul_f64 v[104:105], v[206:207], v[112:113]
	v_mul_f64 v[108:109], v[14:15], v[112:113]
	v_add_f64 v[26:27], v[66:67], -v[26:27]
	v_fma_f64 v[24:25], v[24:25], v[106:107], v[224:225]
	v_add_f64 v[28:29], v[64:65], -v[28:29]
	v_fma_f64 v[98:99], v[204:205], v[106:107], -v[98:99]
	v_add_f64 v[22:23], v[48:49], -v[22:23]
	v_fma_f64 v[14:15], v[14:15], v[110:111], v[104:105]
	v_fma_f64 v[104:105], v[206:207], v[110:111], -v[108:109]
	v_add_f64 v[24:25], v[38:39], -v[24:25]
	s_waitcnt vmcnt(7)
	v_mul_f64 v[112:113], v[208:209], v[116:117]
	v_mul_f64 v[116:117], v[16:17], v[116:117]
	s_waitcnt vmcnt(5)
	v_mul_f64 v[220:221], v[200:201], v[168:169]
	s_waitcnt lgkmcnt(2)
	v_mul_f64 v[192:193], v[210:211], v[120:121]
	v_mul_f64 v[120:121], v[18:19], v[120:121]
	v_fma_f64 v[64:65], v[64:65], 2.0, -v[28:29]
	v_add_f64 v[14:15], v[40:41], -v[14:15]
	s_waitcnt vmcnt(4)
	v_mul_f64 v[194:195], v[212:213], v[172:173]
	s_waitcnt vmcnt(3) lgkmcnt(1)
	v_mul_f64 v[196:197], v[30:31], v[176:177]
	v_mul_f64 v[172:173], v[20:21], v[172:173]
	;; [unrolled: 1-line block ×3, first 2 shown]
	v_fma_f64 v[16:17], v[16:17], v[114:115], v[112:113]
	v_fma_f64 v[106:107], v[208:209], v[114:115], -v[116:117]
	v_fma_f64 v[100:101], v[4:5], v[166:167], v[220:221]
	v_fma_f64 v[18:19], v[18:19], v[118:119], v[192:193]
	v_mul_f64 v[4:5], v[4:5], v[168:169]
	v_add_nc_u32_e32 v193, 0x1e00, v1
	v_fma_f64 v[108:109], v[210:211], v[118:119], -v[120:121]
	v_fma_f64 v[20:21], v[20:21], v[170:171], v[194:195]
	v_fma_f64 v[6:7], v[6:7], v[174:175], v[196:197]
	v_fma_f64 v[110:111], v[212:213], v[170:171], -v[172:173]
	v_fma_f64 v[30:31], v[30:31], v[174:175], -v[176:177]
	s_waitcnt vmcnt(2)
	v_mul_f64 v[202:203], v[32:33], v[180:181]
	v_mul_f64 v[180:181], v[8:9], v[180:181]
	s_waitcnt vmcnt(1) lgkmcnt(0)
	v_mul_f64 v[214:215], v[34:35], v[184:185]
	v_mul_f64 v[184:185], v[10:11], v[184:185]
	s_waitcnt vmcnt(0)
	v_mul_f64 v[216:217], v[36:37], v[188:189]
	v_mul_f64 v[188:189], v[12:13], v[188:189]
	v_add_f64 v[100:101], v[2:3], -v[100:101]
	v_add_f64 v[16:17], v[42:43], -v[16:17]
	;; [unrolled: 1-line block ×3, first 2 shown]
	v_fma_f64 v[4:5], v[200:201], v[166:167], -v[4:5]
	v_add_f64 v[20:21], v[46:47], -v[20:21]
	v_add_f64 v[6:7], v[50:51], -v[6:7]
	v_fma_f64 v[8:9], v[8:9], v[178:179], v[202:203]
	v_fma_f64 v[112:113], v[32:33], v[178:179], -v[180:181]
	v_add_f64 v[32:33], v[60:61], -v[149:150]
	v_fma_f64 v[114:115], v[34:35], v[182:183], -v[184:185]
	v_add_f64 v[34:35], v[62:63], -v[92:93]
	v_fma_f64 v[116:117], v[36:37], v[186:187], -v[188:189]
	v_fma_f64 v[2:3], v[2:3], 2.0, -v[100:101]
	v_fma_f64 v[10:11], v[10:11], v[182:183], v[214:215]
	v_fma_f64 v[12:13], v[12:13], v[186:187], v[216:217]
	v_lshl_add_u32 v92, v0, 3, 0
	ds_read_b64 v[118:119], v131
	ds_read_b64 v[120:121], v137
	;; [unrolled: 1-line block ×14, first 2 shown]
	s_waitcnt lgkmcnt(0)
	s_barrier
	buffer_gl0_inv
	v_add_nc_u32_e32 v189, 0xf80, v92
	v_and_b32_e32 v216, 0xffff, v70
	v_add_f64 v[8:9], v[52:53], -v[8:9]
	v_fma_f64 v[36:37], v[60:61], 2.0, -v[32:33]
	v_fma_f64 v[60:61], v[62:63], 2.0, -v[34:35]
	;; [unrolled: 1-line block ×3, first 2 shown]
	v_cndmask_b32_e64 v66, 0, 0xf00, s0
	v_mul_u32_u24_e32 v67, 0xf00, v80
	ds_write2_b64 v155, v[2:3], v[100:101] offset1:240
	v_fma_f64 v[1:2], v[48:49], 2.0, -v[22:23]
	v_mul_u32_u24_e32 v3, 0xf00, v77
	v_add3_u32 v188, 0, v66, v56
	v_add3_u32 v192, 0, v67, v79
	ds_write2_b64 v188, v[36:37], v[32:33] offset1:240
	ds_write2_b64 v189, v[60:61], v[34:35] offset1:240
	;; [unrolled: 1-line block ×4, first 2 shown]
	v_fma_f64 v[26:27], v[38:39], 2.0, -v[24:25]
	v_fma_f64 v[28:29], v[40:41], 2.0, -v[14:15]
	;; [unrolled: 1-line block ×4, first 2 shown]
	v_lshlrev_b32_sdwa v36, v139, v81 dst_sel:DWORD dst_unused:UNUSED_PAD src0_sel:DWORD src1_sel:WORD_0
	v_add_f64 v[10:11], v[54:55], -v[10:11]
	v_add_f64 v[64:65], v[198:199], -v[4:5]
	;; [unrolled: 1-line block ×4, first 2 shown]
	v_add3_u32 v194, 0, v3, v36
	v_lshl_add_u32 v3, v78, 3, 0
	v_add_f64 v[77:78], v[120:121], -v[190:191]
	v_mul_u32_u24_e32 v4, 0xf00, v82
	v_lshlrev_b32_sdwa v5, v139, v83 dst_sel:DWORD dst_unused:UNUSED_PAD src0_sel:DWORD src1_sel:WORD_0
	v_lshl_add_u32 v36, v84, 3, 0
	v_mul_u32_u24_e32 v37, 0xf00, v85
	v_lshlrev_b32_sdwa v38, v139, v89 dst_sel:DWORD dst_unused:UNUSED_PAD src0_sel:DWORD src1_sel:WORD_0
	v_add_nc_u32_e32 v85, 0x2d00, v3
	v_add3_u32 v195, 0, v4, v5
	v_add_nc_u32_e32 v196, 0x3c00, v36
	v_add_f64 v[79:80], v[176:177], -v[94:95]
	v_add3_u32 v197, 0, v37, v38
	v_add_f64 v[81:82], v[174:175], -v[96:97]
	v_add_f64 v[83:84], v[149:150], -v[102:103]
	ds_write2_b64 v194, v[1:2], v[22:23] offset1:240
	ds_write2_b64 v85, v[26:27], v[24:25] offset1:240
	;; [unrolled: 1-line block ×5, first 2 shown]
	v_lshl_add_u32 v15, v88, 3, 0
	v_add_f64 v[88:89], v[166:167], -v[98:99]
	v_add_f64 v[90:91], v[168:169], -v[104:105]
	;; [unrolled: 1-line block ×3, first 2 shown]
	v_fma_f64 v[1:2], v[46:47], 2.0, -v[20:21]
	v_fma_f64 v[36:37], v[54:55], 2.0, -v[10:11]
	;; [unrolled: 1-line block ×3, first 2 shown]
	v_add_f64 v[95:96], v[172:173], -v[108:109]
	v_add_f64 v[97:98], v[178:179], -v[110:111]
	;; [unrolled: 1-line block ×4, first 2 shown]
	v_fma_f64 v[3:4], v[50:51], 2.0, -v[6:7]
	v_fma_f64 v[105:106], v[118:119], 2.0, -v[66:67]
	;; [unrolled: 1-line block ×3, first 2 shown]
	v_add_f64 v[99:100], v[180:181], -v[30:31]
	v_fma_f64 v[107:108], v[120:121], 2.0, -v[77:78]
	v_add_f64 v[101:102], v[182:183], -v[112:113]
	v_fma_f64 v[38:39], v[58:59], 2.0, -v[12:13]
	v_fma_f64 v[111:112], v[176:177], 2.0, -v[79:80]
	;; [unrolled: 1-line block ×3, first 2 shown]
	v_mul_u32_u24_e32 v5, 0xf00, v226
	v_lshlrev_b32_sdwa v14, v139, v227 dst_sel:DWORD dst_unused:UNUSED_PAD src0_sel:DWORD src1_sel:WORD_0
	v_fma_f64 v[115:116], v[149:150], 2.0, -v[83:84]
	v_lshl_add_u32 v17, v228, 3, 0
	v_fma_f64 v[117:118], v[166:167], 2.0, -v[88:89]
	v_mul_u32_u24_e32 v16, 0xf00, v229
	v_lshlrev_b32_sdwa v18, v139, v230 dst_sel:DWORD dst_unused:UNUSED_PAD src0_sel:DWORD src1_sel:WORD_0
	v_fma_f64 v[119:120], v[168:169], 2.0, -v[90:91]
	v_lshl_add_u32 v19, v231, 3, 0
	v_fma_f64 v[149:150], v[170:171], 2.0, -v[93:94]
	v_add_nc_u32_e32 v198, 0x4b00, v15
	v_add3_u32 v199, 0, v5, v14
	v_add_nc_u32_e32 v200, 0x5a00, v17
	v_add3_u32 v201, 0, v16, v18
	v_add_nc_u32_e32 v202, 0x6900, v19
	ds_write2_b64 v198, v[1:2], v[20:21] offset1:240
	ds_write2_b64 v199, v[3:4], v[6:7] offset1:240
	ds_write2_b64 v200, v[22:23], v[8:9] offset1:240
	ds_write2_b64 v201, v[36:37], v[10:11] offset1:240
	ds_write2_b64 v202, v[38:39], v[12:13] offset1:240
	s_waitcnt lgkmcnt(0)
	s_barrier
	buffer_gl0_inv
	ds_read_b64 v[60:61], v131
	ds_read_b64 v[45:46], v137
	ds_read_b64 v[41:42], v156
	ds_read_b64 v[39:40], v151
	ds_read_b64 v[37:38], v152
	ds_read_b64 v[35:36], v160
	ds_read_b64 v[33:34], v161
	ds_read_b64 v[53:54], v159
	ds_read_b64 v[62:63], v158
	ds_read_b64 v[43:44], v157
	ds_read_b64 v[58:59], v162
	ds_read_b64 v[51:52], v163
	ds_read_b64 v[47:48], v164
	ds_read_b64 v[49:50], v165
	ds_read2st64_b64 v[1:4], v155 offset1:30
	ds_read2st64_b64 v[29:32], v155 offset0:32 offset1:34
	ds_read2st64_b64 v[25:28], v155 offset0:36 offset1:38
	;; [unrolled: 1-line block ×4, first 2 shown]
	v_fma_f64 v[166:167], v[172:173], 2.0, -v[95:96]
	ds_read2st64_b64 v[21:24], v155 offset0:48 offset1:50
	ds_read2st64_b64 v[13:16], v155 offset0:52 offset1:54
	;; [unrolled: 1-line block ×3, first 2 shown]
	s_waitcnt lgkmcnt(0)
	v_fma_f64 v[174:175], v[184:185], 2.0, -v[103:104]
	s_barrier
	buffer_gl0_inv
	ds_write2_b64 v155, v[55:56], v[64:65] offset1:240
	ds_write2_b64 v188, v[105:106], v[66:67] offset1:240
	;; [unrolled: 1-line block ×3, first 2 shown]
	v_fma_f64 v[55:56], v[186:187], 2.0, -v[109:110]
	v_fma_f64 v[168:169], v[178:179], 2.0, -v[97:98]
	;; [unrolled: 1-line block ×4, first 2 shown]
	v_lshlrev_b64 v[64:65], 4, v[126:127]
	ds_write2_b64 v192, v[111:112], v[79:80] offset1:240
	ds_write2_b64 v193, v[113:114], v[81:82] offset1:240
	;; [unrolled: 1-line block ×10, first 2 shown]
	v_add_co_u32 v88, s0, s12, v64
	v_add_co_ci_u32_e64 v89, s0, s13, v65, s0
	v_lshlrev_b64 v[64:65], 4, v[128:129]
	v_add_co_u32 v66, s0, 0x1800, v88
	v_add_co_ci_u32_e64 v67, s0, 0, v89, s0
	ds_write2_b64 v201, v[174:175], v[103:104] offset1:240
	v_add_co_u32 v90, s0, s12, v64
	v_add_co_ci_u32_e64 v91, s0, s13, v65, s0
	ds_write2_b64 v202, v[55:56], v[109:110] offset1:240
	v_add_nc_u32_e32 v55, 0xffffffa0, v0
	v_cmp_gt_u32_e64 s0, 0x1e0, v147
	s_waitcnt lgkmcnt(0)
	s_barrier
	buffer_gl0_inv
	v_lshrrev_b32_e32 v113, 24, v71
	v_cndmask_b32_e64 v56, v55, v147, s0
	v_add_co_u32 v64, s0, 0x1800, v90
	v_add_co_ci_u32_e64 v65, s0, 0, v91, s0
	v_lshlrev_b64 v[93:94], 4, v[56:57]
	s_clause 0x1
	global_load_dwordx4 v[77:80], v[66:67], off offset:1376
	global_load_dwordx4 v[81:84], v[64:65], off offset:1376
	v_add_nc_u32_e32 v64, 0xa0, v0
	v_mov_b32_e32 v65, v57
	v_lshrrev_b32_e32 v150, 24, v69
	v_add_co_u32 v55, s0, s12, v93
	v_add_co_ci_u32_e64 v67, s0, s13, v94, s0
	v_lshlrev_b64 v[64:65], 4, v[64:65]
	v_add_co_u32 v66, s0, 0x1800, v55
	v_add_co_ci_u32_e64 v67, s0, 0, v67, s0
	v_add_co_u32 v117, s0, 0x1800, v86
	v_add_co_ci_u32_e64 v118, s0, 0, v87, s0
	v_lshrrev_b32_e32 v55, 24, v76
	v_add_co_u32 v64, s0, s12, v64
	v_add_nc_u32_e32 v93, 0x120, v0
	v_mov_b32_e32 v94, v57
	v_add_co_ci_u32_e64 v65, s0, s13, v65, s0
	v_mul_lo_u16 v76, 0x1e0, v55
	v_add_co_u32 v97, s0, 0x1800, v64
	v_lshlrev_b64 v[93:94], 4, v[93:94]
	v_add_co_ci_u32_e64 v98, s0, 0, v65, s0
	v_lshrrev_b32_e32 v65, 24, v75
	v_sub_nc_u16 v64, v130, v76
	v_lshlrev_b32_e32 v56, 3, v56
	v_add_co_u32 v75, s0, s12, v93
	v_mul_lo_u16 v65, 0x1e0, v65
	v_add_co_ci_u32_e64 v76, s0, s13, v94, s0
	v_lshlrev_b32_sdwa v85, v68, v64 dst_sel:DWORD dst_unused:UNUSED_PAD src0_sel:DWORD src1_sel:WORD_0
	v_add_co_u32 v75, s0, 0x1800, v75
	v_sub_nc_u16 v65, v132, v65
	v_add_co_ci_u32_e64 v76, s0, 0, v76, s0
	v_add_co_u32 v85, s0, s12, v85
	v_add_co_ci_u32_e64 v93, null, s13, 0, s0
	v_and_b32_e32 v65, 0xffff, v65
	v_add_co_u32 v105, s0, 0x1800, v85
	v_add_co_ci_u32_e64 v106, s0, 0, v93, s0
	s_clause 0x1
	global_load_dwordx4 v[93:96], v[66:67], off offset:1376
	global_load_dwordx4 v[97:100], v[97:98], off offset:1376
	v_lshlrev_b32_e32 v67, 4, v65
	v_and_b32_e32 v66, 0xffff, v74
	s_clause 0x1
	global_load_dwordx4 v[101:104], v[75:76], off offset:1376
	global_load_dwordx4 v[105:108], v[105:106], off offset:1376
	v_mul_lo_u16 v76, 0x1e0, v73
	v_lshrrev_b32_e32 v85, 24, v72
	v_add_co_u32 v67, s0, s12, v67
	v_add_co_ci_u32_e64 v74, null, s13, 0, s0
	v_lshlrev_b32_e32 v75, 4, v66
	v_add_co_u32 v73, s0, 0x1800, v67
	v_add_co_ci_u32_e64 v74, s0, 0, v74, s0
	v_sub_nc_u16 v67, v134, v76
	v_add_co_u32 v75, s0, s12, v75
	v_add_co_ci_u32_e64 v76, null, s13, 0, s0
	v_and_b32_e32 v67, 0xffff, v67
	v_add_co_u32 v75, s0, 0x1800, v75
	v_add_co_ci_u32_e64 v76, s0, 0, v76, s0
	v_lshlrev_b32_e32 v114, 4, v67
	s_clause 0x1
	global_load_dwordx4 v[71:74], v[73:74], off offset:1376
	global_load_dwordx4 v[109:112], v[75:76], off offset:1376
	v_mul_lo_u16 v76, 0x1e0, v113
	v_mul_lo_u16 v75, 0x1e0, v85
	v_add_co_u32 v113, s0, s12, v114
	v_add_co_ci_u32_e64 v114, null, s13, 0, s0
	v_sub_nc_u16 v115, v136, v76
	v_sub_nc_u16 v121, v135, v75
	v_add_co_u32 v75, s0, 0x1800, v113
	v_add_co_ci_u32_e64 v76, s0, 0, v114, s0
	v_and_b32_e32 v127, 0xffff, v115
	s_clause 0x1
	global_load_dwordx4 v[113:116], v[117:118], off offset:1888
	global_load_dwordx4 v[117:120], v[117:118], off offset:1376
	v_lshlrev_b32_sdwa v68, v68, v121 dst_sel:DWORD dst_unused:UNUSED_PAD src0_sel:DWORD src1_sel:WORD_0
	v_lshlrev_b32_e32 v149, 4, v127
	v_lshl_add_u32 v127, v127, 3, 0
	v_add_co_u32 v68, s0, s12, v68
	v_add_co_ci_u32_e64 v129, null, s13, 0, s0
	v_add_co_u32 v68, s0, 0x1800, v68
	v_add_co_ci_u32_e64 v69, s0, 0, v129, s0
	v_add_co_u32 v149, s0, s12, v149
	v_mul_lo_u16 v129, 0x1e0, v150
	v_add_co_ci_u32_e64 v150, null, s13, 0, s0
	v_add_co_u32 v149, s0, 0x1800, v149
	v_sub_nc_u16 v70, v140, v129
	v_add_co_ci_u32_e64 v150, s0, 0, v150, s0
	s_clause 0x2
	global_load_dwordx4 v[166:169], v[75:76], off offset:1376
	global_load_dwordx4 v[170:173], v[68:69], off offset:1376
	;; [unrolled: 1-line block ×3, first 2 shown]
	v_and_b32_e32 v129, 0xffff, v70
	v_lshlrev_b32_e32 v70, 4, v216
	v_lshlrev_b32_e32 v68, 4, v129
	v_add_co_u32 v69, s0, s12, v70
	v_add_co_ci_u32_e64 v70, null, s13, 0, s0
	v_add_co_u32 v75, s0, s12, v68
	v_add_co_ci_u32_e64 v76, null, s13, 0, s0
	v_add_co_u32 v68, s0, 0x1800, v69
	v_add_co_ci_u32_e64 v69, s0, 0, v70, s0
	v_add_co_u32 v75, s0, 0x1800, v75
	v_add_co_ci_u32_e64 v76, s0, 0, v76, s0
	s_clause 0x1
	global_load_dwordx4 v[178:181], v[68:69], off offset:1376
	global_load_dwordx4 v[182:185], v[75:76], off offset:1376
	ds_read2st64_b64 v[186:189], v155 offset0:32 offset1:34
	ds_read2st64_b64 v[190:193], v155 offset1:30
	ds_read2st64_b64 v[194:197], v155 offset0:36 offset1:38
	ds_read2st64_b64 v[198:201], v155 offset0:40 offset1:42
	;; [unrolled: 1-line block ×4, first 2 shown]
	v_cmp_lt_u32_e64 s0, 0x1df, v147
	v_lshl_add_u32 v129, v129, 3, 0
	s_waitcnt vmcnt(14) lgkmcnt(5)
	v_mul_f64 v[68:69], v[186:187], v[79:80]
	v_mul_f64 v[75:76], v[29:30], v[79:80]
	s_waitcnt vmcnt(13)
	v_mul_f64 v[79:80], v[188:189], v[83:84]
	v_mul_f64 v[83:84], v[31:32], v[83:84]
	v_fma_f64 v[68:69], v[29:30], v[77:78], v[68:69]
	v_fma_f64 v[186:187], v[186:187], v[77:78], -v[75:76]
	v_fma_f64 v[79:80], v[31:32], v[81:82], v[79:80]
	ds_read2st64_b64 v[29:32], v155 offset0:52 offset1:54
	v_fma_f64 v[81:82], v[188:189], v[81:82], -v[83:84]
	ds_read2st64_b64 v[75:78], v155 offset0:56 offset1:58
	s_waitcnt vmcnt(12) lgkmcnt(5)
	v_mul_f64 v[210:211], v[194:195], v[95:96]
	v_mul_f64 v[95:96], v[25:26], v[95:96]
	s_waitcnt vmcnt(11) lgkmcnt(4)
	v_mul_f64 v[214:215], v[198:199], v[99:100]
	v_fma_f64 v[25:26], v[25:26], v[93:94], v[210:211]
	v_fma_f64 v[93:94], v[194:195], v[93:94], -v[95:96]
	v_mul_f64 v[95:96], v[9:10], v[99:100]
	v_fma_f64 v[9:10], v[9:10], v[97:98], v[214:215]
	s_waitcnt vmcnt(7) lgkmcnt(2)
	v_mul_f64 v[188:189], v[206:207], v[111:112]
	v_mul_f64 v[111:112], v[21:22], v[111:112]
	s_waitcnt vmcnt(6)
	v_mul_f64 v[212:213], v[196:197], v[115:116]
	s_waitcnt vmcnt(5)
	v_mul_f64 v[149:150], v[192:193], v[119:120]
	v_mul_f64 v[115:116], v[27:28], v[115:116]
	v_add_f64 v[25:26], v[62:63], -v[25:26]
	v_fma_f64 v[95:96], v[198:199], v[97:98], -v[95:96]
	v_add_f64 v[9:10], v[41:42], -v[9:10]
	v_fma_f64 v[21:22], v[21:22], v[109:110], v[188:189]
	v_fma_f64 v[27:28], v[27:28], v[113:114], v[212:213]
	;; [unrolled: 1-line block ×3, first 2 shown]
	v_fma_f64 v[99:100], v[196:197], v[113:114], -v[115:116]
	v_mul_f64 v[113:114], v[200:201], v[103:104]
	v_mul_f64 v[103:104], v[11:12], v[103:104]
	;; [unrolled: 1-line block ×4, first 2 shown]
	s_waitcnt vmcnt(3) lgkmcnt(1)
	v_mul_f64 v[196:197], v[29:30], v[172:173]
	v_mul_f64 v[172:173], v[13:14], v[172:173]
	s_waitcnt vmcnt(2)
	v_mul_f64 v[210:211], v[31:32], v[176:177]
	v_mul_f64 v[176:177], v[15:16], v[176:177]
	;; [unrolled: 1-line block ×7, first 2 shown]
	v_fma_f64 v[41:42], v[41:42], 2.0, -v[9:10]
	v_add_f64 v[21:22], v[33:34], -v[21:22]
	v_add_f64 v[27:28], v[53:54], -v[27:28]
	;; [unrolled: 1-line block ×3, first 2 shown]
	v_fma_f64 v[11:12], v[11:12], v[101:102], v[113:114]
	v_fma_f64 v[97:98], v[200:201], v[101:102], -v[103:104]
	v_fma_f64 v[17:18], v[17:18], v[105:106], v[115:116]
	v_fma_f64 v[101:102], v[202:203], v[105:106], -v[107:108]
	s_waitcnt vmcnt(1) lgkmcnt(0)
	v_mul_f64 v[212:213], v[75:76], v[180:181]
	v_fma_f64 v[105:106], v[29:30], v[170:171], -v[172:173]
	v_add_f64 v[29:30], v[60:61], -v[68:69]
	v_fma_f64 v[68:69], v[31:32], v[174:175], -v[176:177]
	v_add_f64 v[31:32], v[45:46], -v[79:80]
	v_mul_f64 v[180:181], v[5:6], v[180:181]
	s_waitcnt vmcnt(0)
	v_mul_f64 v[214:215], v[77:78], v[184:185]
	v_mul_f64 v[184:185], v[7:8], v[184:185]
	v_fma_f64 v[19:20], v[19:20], v[71:72], v[149:150]
	v_fma_f64 v[70:71], v[204:205], v[71:72], -v[73:74]
	v_fma_f64 v[72:73], v[206:207], v[109:110], -v[111:112]
	v_fma_f64 v[23:24], v[23:24], v[166:167], v[194:195]
	v_fma_f64 v[103:104], v[208:209], v[166:167], -v[168:169]
	v_fma_f64 v[13:14], v[13:14], v[170:171], v[196:197]
	v_fma_f64 v[15:16], v[15:16], v[174:175], v[210:211]
	v_fma_f64 v[3:4], v[192:193], v[117:118], -v[3:4]
	v_fma_f64 v[1:2], v[1:2], 2.0, -v[83:84]
	ds_read_b64 v[107:108], v131
	ds_read_b64 v[109:110], v137
	v_add_f64 v[11:12], v[39:40], -v[11:12]
	v_fma_f64 v[53:54], v[53:54], 2.0, -v[27:28]
	v_add_f64 v[17:18], v[37:38], -v[17:18]
	v_add_nc_u32_e32 v177, 0x100, v92
	v_fma_f64 v[5:6], v[5:6], v[178:179], v[212:213]
	v_fma_f64 v[60:61], v[60:61], 2.0, -v[29:30]
	v_fma_f64 v[45:46], v[45:46], 2.0, -v[31:32]
	v_fma_f64 v[74:75], v[75:76], v[178:179], -v[180:181]
	v_fma_f64 v[7:8], v[7:8], v[182:183], v[214:215]
	v_fma_f64 v[76:77], v[77:78], v[182:183], -v[184:185]
	ds_read_b64 v[78:79], v156
	ds_read_b64 v[111:112], v151
	;; [unrolled: 1-line block ×12, first 2 shown]
	s_waitcnt lgkmcnt(0)
	s_barrier
	buffer_gl0_inv
	ds_write_b64 v155, v[83:84] offset:3840
	ds_write_b64 v155, v[1:2]
	v_fma_f64 v[1:2], v[62:63], 2.0, -v[25:26]
	v_fma_f64 v[39:40], v[39:40], 2.0, -v[11:12]
	v_cndmask_b32_e64 v62, 0, 0x1e00, s0
	v_add_f64 v[19:20], v[35:36], -v[19:20]
	v_add_f64 v[13:14], v[58:59], -v[13:14]
	;; [unrolled: 1-line block ×4, first 2 shown]
	v_add3_u32 v176, 0, v62, v56
	ds_write_b64 v131, v[60:61]
	ds_write_b64 v131, v[29:30] offset:3840
	ds_write_b64 v137, v[45:46]
	ds_write_b64 v137, v[31:32] offset:3840
	ds_write_b64 v176, v[1:2]
	v_mul_u32_u24_e32 v31, 0x1e00, v55
	v_lshlrev_b32_sdwa v32, v139, v64 dst_sel:DWORD dst_unused:UNUSED_PAD src0_sel:DWORD src1_sel:WORD_0
	v_add_f64 v[23:24], v[43:44], -v[23:24]
	v_add_f64 v[5:6], v[47:48], -v[5:6]
	v_add_nc_u32_e32 v178, 0x2700, v92
	v_fma_f64 v[15:16], v[37:38], 2.0, -v[17:18]
	v_add3_u32 v179, 0, v31, v32
	v_add_f64 v[7:8], v[49:50], -v[7:8]
	ds_write_b64 v176, v[25:26] offset:3840
	ds_write2st64_b64 v177, v[53:54], v[41:42] offset0:15 offset1:17
	ds_write2_b64 v178, v[39:40], v[27:28] offset1:224
	ds_write2st64_b64 v92, v[9:10], v[11:12] offset0:25 offset1:27
	v_lshl_add_u32 v180, v65, 3, 0
	ds_write_b64 v179, v[17:18] offset:3840
	v_lshlrev_b32_sdwa v17, v139, v121 dst_sel:DWORD dst_unused:UNUSED_PAD src0_sel:DWORD src1_sel:WORD_0
	v_lshl_add_u32 v121, v66, 3, 0
	v_lshl_add_u32 v139, v67, 3, 0
	v_add_f64 v[64:65], v[107:108], -v[186:187]
	v_add_f64 v[66:67], v[109:110], -v[81:82]
	;; [unrolled: 1-line block ×10, first 2 shown]
	v_fma_f64 v[1:2], v[35:36], 2.0, -v[19:20]
	v_fma_f64 v[31:32], v[58:59], 2.0, -v[13:14]
	;; [unrolled: 1-line block ×4, first 2 shown]
	v_add_f64 v[103:104], v[168:169], -v[105:106]
	v_fma_f64 v[29:30], v[33:34], 2.0, -v[21:22]
	v_fma_f64 v[25:26], v[43:44], 2.0, -v[23:24]
	;; [unrolled: 1-line block ×3, first 2 shown]
	v_add_f64 v[68:69], v[170:171], -v[68:69]
	ds_write_b64 v179, v[15:16]
	v_fma_f64 v[15:16], v[49:50], 2.0, -v[7:8]
	v_add_f64 v[74:75], v[172:173], -v[74:75]
	v_add_f64 v[76:77], v[174:175], -v[76:77]
	v_fma_f64 v[105:106], v[107:108], 2.0, -v[64:65]
	v_fma_f64 v[107:108], v[109:110], 2.0, -v[66:67]
	;; [unrolled: 1-line block ×5, first 2 shown]
	v_mul_u32_u24_e32 v18, 0x1e00, v85
	v_fma_f64 v[111:112], v[111:112], 2.0, -v[97:98]
	v_fma_f64 v[113:114], v[113:114], 2.0, -v[99:100]
	;; [unrolled: 1-line block ×4, first 2 shown]
	v_add3_u32 v181, 0, v18, v17
	v_lshl_add_u32 v182, v216, 3, 0
	v_fma_f64 v[149:150], v[166:167], 2.0, -v[101:102]
	ds_write_b64 v180, v[1:2] offset:15360
	ds_write_b64 v180, v[19:20] offset:19200
	;; [unrolled: 1-line block ×6, first 2 shown]
	ds_write_b64 v181, v[31:32]
	ds_write_b64 v181, v[13:14] offset:3840
	ds_write_b64 v127, v[9:10] offset:23040
	;; [unrolled: 1-line block ×7, first 2 shown]
	s_waitcnt lgkmcnt(0)
	s_barrier
	buffer_gl0_inv
	ds_read_b64 v[33:34], v131
	ds_read_b64 v[35:36], v137
	;; [unrolled: 1-line block ×14, first 2 shown]
	ds_read2st64_b64 v[1:4], v155 offset1:30
	ds_read2st64_b64 v[29:32], v155 offset0:32 offset1:34
	ds_read2st64_b64 v[25:28], v155 offset0:36 offset1:38
	;; [unrolled: 1-line block ×7, first 2 shown]
	s_waitcnt lgkmcnt(0)
	s_barrier
	buffer_gl0_inv
	ds_write_b64 v155, v[55:56]
	v_fma_f64 v[55:56], v[168:169], 2.0, -v[103:104]
	ds_write_b64 v155, v[83:84] offset:3840
	v_fma_f64 v[82:83], v[170:171], 2.0, -v[68:69]
	v_fma_f64 v[84:85], v[172:173], 2.0, -v[74:75]
	ds_write_b64 v131, v[64:65] offset:3840
	v_fma_f64 v[64:65], v[174:175], 2.0, -v[76:77]
	ds_write_b64 v131, v[105:106]
	ds_write_b64 v137, v[107:108]
	ds_write_b64 v137, v[66:67] offset:3840
	ds_write_b64 v176, v[109:110]
	ds_write_b64 v176, v[80:81] offset:3840
	ds_write2st64_b64 v177, v[119:120], v[78:79] offset0:15 offset1:17
	ds_write2_b64 v178, v[111:112], v[93:94] offset1:224
	ds_write2st64_b64 v92, v[95:96], v[97:98] offset0:25 offset1:27
	ds_write_b64 v179, v[113:114]
	ds_write_b64 v179, v[99:100] offset:3840
	ds_write_b64 v180, v[115:116] offset:15360
	ds_write_b64 v180, v[70:71] offset:19200
	ds_write_b64 v121, v[117:118] offset:15360
	ds_write_b64 v121, v[72:73] offset:19200
	ds_write_b64 v139, v[149:150] offset:15360
	ds_write_b64 v139, v[101:102] offset:19200
	ds_write_b64 v181, v[55:56]
	ds_write_b64 v181, v[103:104] offset:3840
	ds_write_b64 v127, v[82:83] offset:23040
	;; [unrolled: 1-line block ×6, first 2 shown]
	v_add_co_u32 v55, s0, 0x3800, v88
	v_lshlrev_b64 v[72:73], 4, v[147:148]
	v_add_co_ci_u32_e64 v56, s0, 0, v89, s0
	v_add_co_u32 v68, s0, 0x3800, v90
	v_add_co_ci_u32_e64 v69, s0, 0, v91, s0
	v_add_co_u32 v93, s0, s12, v72
	ds_write_b64 v129, v[76:77] offset:26880
	s_waitcnt lgkmcnt(0)
	s_barrier
	buffer_gl0_inv
	s_clause 0x1
	global_load_dwordx4 v[64:67], v[55:56], off offset:864
	global_load_dwordx4 v[68:71], v[68:69], off offset:864
	v_add_co_ci_u32_e64 v94, s0, s13, v73, s0
	v_lshlrev_b64 v[55:56], 4, v[145:146]
	v_add_co_u32 v72, s0, 0x3800, v93
	v_add_co_ci_u32_e64 v73, s0, 0, v94, s0
	v_add_nc_u32_e32 v74, 0xfffffc40, v130
	v_add_co_u32 v95, s0, s12, v55
	v_add_co_ci_u32_e64 v96, s0, s13, v56, s0
	v_lshlrev_b64 v[55:56], 4, v[143:144]
	v_add_co_u32 v76, s0, 0x3800, v95
	v_add_co_ci_u32_e64 v77, s0, 0, v96, s0
	v_add_nc_u32_e32 v107, 0x140, v0
	v_add_co_u32 v97, s0, s12, v55
	v_add_co_ci_u32_e64 v98, s0, s13, v56, s0
	v_lshlrev_b64 v[55:56], 4, v[141:142]
	v_add_co_u32 v80, s0, 0x3800, v97
	v_add_co_ci_u32_e64 v81, s0, 0, v98, s0
	v_mov_b32_e32 v108, v57
	v_add_co_u32 v99, s0, s12, v55
	v_add_co_ci_u32_e64 v100, s0, s13, v56, s0
	v_cmp_gt_u32_e64 s0, 0x3c0, v130
	v_add_nc_u32_e32 v117, 0x240, v0
	v_mov_b32_e32 v118, v57
	v_add_nc_u32_e32 v147, 0x340, v0
	v_mov_b32_e32 v148, v57
	v_cndmask_b32_e64 v56, v74, v130, s0
	v_add_co_u32 v84, s0, 0x3800, v99
	v_add_co_ci_u32_e64 v85, s0, 0, v100, s0
	v_lshlrev_b64 v[105:106], 4, v[56:57]
	s_clause 0x3
	global_load_dwordx4 v[72:75], v[72:73], off offset:864
	global_load_dwordx4 v[76:79], v[76:77], off offset:864
	;; [unrolled: 1-line block ×4, first 2 shown]
	v_add_nc_u32_e32 v84, 0xc0, v0
	v_mov_b32_e32 v85, v57
	v_lshlrev_b64 v[145:146], 4, v[117:118]
	v_lshlrev_b64 v[147:148], 4, v[147:148]
	v_add_co_u32 v55, s0, s12, v105
	v_add_co_ci_u32_e64 v106, s0, s13, v106, s0
	v_lshlrev_b64 v[84:85], 4, v[84:85]
	v_add_co_u32 v105, s0, 0x3800, v55
	v_add_co_ci_u32_e64 v106, s0, 0, v106, s0
	v_add_co_u32 v141, s0, 0x3800, v86
	v_add_co_ci_u32_e64 v142, s0, 0, v87, s0
	;; [unrolled: 2-line block ×3, first 2 shown]
	v_lshlrev_b64 v[84:85], 4, v[107:108]
	v_add_co_u32 v109, s0, 0x3800, v55
	v_add_co_ci_u32_e64 v110, s0, 0, v110, s0
	v_lshlrev_b32_e32 v56, 3, v56
	v_add_co_u32 v55, s0, s12, v84
	v_add_co_ci_u32_e64 v107, s0, s13, v85, s0
	v_add_nc_u32_e32 v84, 0x1c0, v0
	v_mov_b32_e32 v85, v57
	v_add_co_u32 v113, s0, 0x3800, v55
	v_add_co_ci_u32_e64 v114, s0, 0, v107, s0
	v_lshlrev_b64 v[84:85], 4, v[84:85]
	s_clause 0x4
	global_load_dwordx4 v[105:108], v[105:106], off offset:864
	global_load_dwordx4 v[109:112], v[109:110], off offset:864
	;; [unrolled: 1-line block ×5, first 2 shown]
	v_add_co_u32 v55, s0, s12, v84
	v_add_co_ci_u32_e64 v121, s0, s13, v85, s0
	v_add_nc_u32_e32 v84, 0x2c0, v0
	v_mov_b32_e32 v85, v57
	v_add_co_u32 v127, s0, s12, v145
	v_add_co_ci_u32_e64 v129, s0, s13, v146, s0
	v_add_co_u32 v145, s0, 0x3800, v55
	v_lshlrev_b64 v[84:85], 4, v[84:85]
	v_add_co_ci_u32_e64 v146, s0, 0, v121, s0
	v_add_co_u32 v149, s0, 0x3800, v127
	v_add_co_ci_u32_e64 v150, s0, 0, v129, s0
	v_add_co_u32 v55, s0, s12, v84
	;; [unrolled: 2-line block ×5, first 2 shown]
	v_add_co_ci_u32_e64 v175, s0, 0, v127, s0
	s_clause 0x3
	global_load_dwordx4 v[145:148], v[145:146], off offset:864
	global_load_dwordx4 v[166:169], v[149:150], off offset:864
	;; [unrolled: 1-line block ×4, first 2 shown]
	ds_read2st64_b64 v[178:181], v155 offset0:32 offset1:34
	ds_read2st64_b64 v[182:185], v155 offset0:36 offset1:38
	ds_read2st64_b64 v[186:189], v155 offset1:30
	ds_read2st64_b64 v[190:193], v155 offset0:40 offset1:42
	ds_read2st64_b64 v[194:197], v155 offset0:44 offset1:46
	;; [unrolled: 1-line block ×3, first 2 shown]
	v_cmp_lt_u32_e64 s0, 0x3bf, v130
	v_cndmask_b32_e64 v55, 0, 0x3c00, s0
	v_add3_u32 v121, 0, v55, v56
	s_waitcnt vmcnt(14) lgkmcnt(5)
	v_mul_f64 v[84:85], v[178:179], v[66:67]
	s_waitcnt vmcnt(13)
	v_mul_f64 v[149:150], v[180:181], v[70:71]
	v_mul_f64 v[66:67], v[29:30], v[66:67]
	;; [unrolled: 1-line block ×3, first 2 shown]
	v_fma_f64 v[84:85], v[29:30], v[64:65], v[84:85]
	v_fma_f64 v[149:150], v[31:32], v[68:69], v[149:150]
	ds_read2st64_b64 v[29:32], v155 offset0:52 offset1:54
	v_fma_f64 v[178:179], v[178:179], v[64:65], -v[66:67]
	ds_read2st64_b64 v[64:67], v155 offset0:56 offset1:58
	v_fma_f64 v[68:69], v[180:181], v[68:69], -v[70:71]
	s_waitcnt vmcnt(12) lgkmcnt(6)
	v_mul_f64 v[202:203], v[182:183], v[74:75]
	v_mul_f64 v[74:75], v[25:26], v[74:75]
	s_waitcnt vmcnt(11)
	v_mul_f64 v[204:205], v[184:185], v[78:79]
	v_mul_f64 v[78:79], v[27:28], v[78:79]
	v_add_f64 v[84:85], v[33:34], -v[84:85]
	v_fma_f64 v[25:26], v[25:26], v[72:73], v[202:203]
	v_fma_f64 v[70:71], v[182:183], v[72:73], -v[74:75]
	v_fma_f64 v[27:28], v[27:28], v[76:77], v[204:205]
	v_fma_f64 v[74:75], v[184:185], v[76:77], -v[78:79]
	s_waitcnt vmcnt(10) lgkmcnt(4)
	v_mul_f64 v[76:77], v[190:191], v[82:83]
	v_mul_f64 v[78:79], v[21:22], v[82:83]
	s_waitcnt vmcnt(9)
	v_mul_f64 v[82:83], v[192:193], v[103:104]
	v_mul_f64 v[103:104], v[23:24], v[103:104]
	v_fma_f64 v[33:34], v[33:34], 2.0, -v[84:85]
	s_waitcnt vmcnt(8) lgkmcnt(3)
	v_mul_f64 v[180:181], v[194:195], v[107:108]
	s_waitcnt vmcnt(7) lgkmcnt(2)
	v_mul_f64 v[184:185], v[198:199], v[111:112]
	v_mul_f64 v[111:112], v[13:14], v[111:112]
	s_waitcnt vmcnt(5)
	v_mul_f64 v[182:183], v[196:197], v[119:120]
	s_waitcnt vmcnt(4)
	v_mul_f64 v[206:207], v[188:189], v[143:144]
	v_mul_f64 v[202:203], v[200:201], v[115:116]
	;; [unrolled: 1-line block ×3, first 2 shown]
	v_fma_f64 v[21:22], v[21:22], v[80:81], v[76:77]
	v_mul_f64 v[119:120], v[11:12], v[119:120]
	v_fma_f64 v[23:24], v[23:24], v[101:102], v[82:83]
	v_mul_f64 v[115:116], v[15:16], v[115:116]
	v_add_f64 v[27:28], v[49:50], -v[27:28]
	v_fma_f64 v[76:77], v[190:191], v[80:81], -v[78:79]
	v_fma_f64 v[78:79], v[192:193], v[101:102], -v[103:104]
	v_add_f64 v[25:26], v[51:52], -v[25:26]
	v_fma_f64 v[9:10], v[9:10], v[105:106], v[180:181]
	v_fma_f64 v[13:14], v[13:14], v[109:110], v[184:185]
	v_fma_f64 v[101:102], v[198:199], v[109:110], -v[111:112]
	v_fma_f64 v[11:12], v[11:12], v[117:118], v[182:183]
	v_fma_f64 v[72:73], v[3:4], v[141:142], v[206:207]
	v_mul_f64 v[3:4], v[3:4], v[143:144]
	v_fma_f64 v[15:16], v[15:16], v[113:114], v[202:203]
	v_add_f64 v[109:110], v[35:36], -v[149:150]
	v_add_f64 v[21:22], v[37:38], -v[21:22]
	;; [unrolled: 1-line block ×3, first 2 shown]
	v_fma_f64 v[80:81], v[194:195], v[105:106], -v[107:108]
	v_fma_f64 v[49:50], v[49:50], 2.0, -v[27:28]
	ds_read_b64 v[105:106], v131
	ds_read_b64 v[107:108], v137
	v_fma_f64 v[82:83], v[196:197], v[117:118], -v[119:120]
	v_fma_f64 v[51:52], v[51:52], 2.0, -v[25:26]
	v_fma_f64 v[103:104], v[200:201], v[113:114], -v[115:116]
	s_waitcnt vmcnt(3) lgkmcnt(3)
	v_mul_f64 v[204:205], v[29:30], v[147:148]
	s_waitcnt vmcnt(2)
	v_mul_f64 v[206:207], v[31:32], v[168:169]
	s_waitcnt vmcnt(1) lgkmcnt(2)
	v_mul_f64 v[208:209], v[64:65], v[172:173]
	s_waitcnt vmcnt(0)
	v_mul_f64 v[210:211], v[66:67], v[176:177]
	v_mul_f64 v[147:148], v[5:6], v[147:148]
	;; [unrolled: 1-line block ×5, first 2 shown]
	v_add_f64 v[9:10], v[41:42], -v[9:10]
	v_add_f64 v[11:12], v[43:44], -v[11:12]
	;; [unrolled: 1-line block ×3, first 2 shown]
	v_fma_f64 v[3:4], v[188:189], v[141:142], -v[3:4]
	v_add_f64 v[13:14], v[45:46], -v[13:14]
	v_add_f64 v[15:16], v[47:48], -v[15:16]
	v_fma_f64 v[35:36], v[35:36], 2.0, -v[109:110]
	v_fma_f64 v[37:38], v[37:38], 2.0, -v[21:22]
	ds_read_b64 v[111:112], v156
	v_fma_f64 v[5:6], v[5:6], v[145:146], v[204:205]
	v_fma_f64 v[7:8], v[7:8], v[166:167], v[206:207]
	;; [unrolled: 1-line block ×4, first 2 shown]
	v_fma_f64 v[29:30], v[29:30], v[145:146], -v[147:148]
	ds_read_b64 v[113:114], v151
	ds_read_b64 v[115:116], v152
	;; [unrolled: 1-line block ×7, first 2 shown]
	v_fma_f64 v[31:32], v[31:32], v[166:167], -v[168:169]
	v_fma_f64 v[64:65], v[64:65], v[170:171], -v[172:173]
	;; [unrolled: 1-line block ×3, first 2 shown]
	ds_read_b64 v[149:150], v162
	ds_read_b64 v[166:167], v163
	;; [unrolled: 1-line block ×4, first 2 shown]
	v_fma_f64 v[1:2], v[1:2], 2.0, -v[72:73]
	v_add_f64 v[147:148], v[186:187], -v[3:4]
	v_fma_f64 v[3:4], v[39:40], 2.0, -v[23:24]
	v_fma_f64 v[39:40], v[41:42], 2.0, -v[9:10]
	;; [unrolled: 1-line block ×5, first 2 shown]
	s_waitcnt lgkmcnt(0)
	s_barrier
	buffer_gl0_inv
	ds_write2st64_b64 v155, v[1:2], v[72:73] offset1:15
	ds_write2st64_b64 v131, v[33:34], v[84:85] offset1:15
	;; [unrolled: 1-line block ×4, first 2 shown]
	v_add_f64 v[5:6], v[53:54], -v[5:6]
	v_add_f64 v[7:8], v[58:59], -v[7:8]
	v_add_f64 v[17:18], v[60:61], -v[17:18]
	v_add_f64 v[19:20], v[62:63], -v[19:20]
	v_add_f64 v[35:36], v[105:106], -v[178:179]
	ds_write2st64_b64 v159, v[49:50], v[27:28] offset1:15
	ds_write2st64_b64 v156, v[37:38], v[21:22] offset1:15
	v_add_f64 v[37:38], v[107:108], -v[68:69]
	v_add_f64 v[49:50], v[117:118], -v[82:83]
	;; [unrolled: 1-line block ×6, first 2 shown]
	v_fma_f64 v[33:34], v[186:187], 2.0, -v[147:148]
	v_fma_f64 v[47:48], v[53:54], 2.0, -v[5:6]
	v_fma_f64 v[53:54], v[58:59], 2.0, -v[7:8]
	v_fma_f64 v[58:59], v[60:61], 2.0, -v[17:18]
	v_fma_f64 v[60:61], v[62:63], 2.0, -v[19:20]
	ds_write2st64_b64 v151, v[3:4], v[23:24] offset1:15
	ds_write2st64_b64 v121, v[39:40], v[9:10] offset1:15
	ds_write2st64_b64 v92, v[41:42], v[43:44] offset0:31 offset1:33
	ds_write2st64_b64 v92, v[13:14], v[15:16] offset0:48 offset1:50
	;; [unrolled: 1-line block ×7, first 2 shown]
	v_add_f64 v[39:40], v[143:144], -v[70:71]
	v_add_f64 v[41:42], v[141:142], -v[74:75]
	;; [unrolled: 1-line block ×7, first 2 shown]
	s_waitcnt lgkmcnt(0)
	s_barrier
	buffer_gl0_inv
	ds_read2st64_b64 v[1:4], v155 offset1:30
	ds_read2st64_b64 v[5:8], v155 offset0:32 offset1:34
	ds_read_b64 v[60:61], v131
	ds_read_b64 v[58:59], v137
	ds_read2st64_b64 v[9:12], v155 offset0:36 offset1:38
	ds_read_b64 v[62:63], v156
	ds_read_b64 v[84:85], v151
	;; [unrolled: 1-line block ×12, first 2 shown]
	ds_read2st64_b64 v[29:32], v155 offset0:40 offset1:42
	ds_read2st64_b64 v[13:16], v155 offset0:44 offset1:46
	;; [unrolled: 1-line block ×5, first 2 shown]
	v_fma_f64 v[105:106], v[105:106], 2.0, -v[35:36]
	v_fma_f64 v[107:108], v[107:108], 2.0, -v[37:38]
	;; [unrolled: 1-line block ×7, first 2 shown]
	s_waitcnt lgkmcnt(0)
	s_barrier
	v_fma_f64 v[143:144], v[143:144], 2.0, -v[39:40]
	v_fma_f64 v[141:142], v[141:142], 2.0, -v[41:42]
	;; [unrolled: 1-line block ×7, first 2 shown]
	buffer_gl0_inv
	ds_write2st64_b64 v155, v[33:34], v[147:148] offset1:15
	ds_write2st64_b64 v131, v[105:106], v[35:36] offset1:15
	;; [unrolled: 1-line block ×8, first 2 shown]
	ds_write2st64_b64 v92, v[117:118], v[119:120] offset0:31 offset1:33
	ds_write2st64_b64 v92, v[51:52], v[53:54] offset0:48 offset1:50
	;; [unrolled: 1-line block ×7, first 2 shown]
	s_waitcnt lgkmcnt(0)
	s_barrier
	buffer_gl0_inv
	s_and_saveexec_b32 s0, vcc_lo
	s_cbranch_execz .LBB0_15
; %bb.14:
	v_mov_b32_e32 v141, v57
	v_mov_b32_e32 v139, v57
	;; [unrolled: 1-line block ×4, first 2 shown]
	v_add_nc_u32_e32 v191, 0x100, v0
	v_lshlrev_b64 v[33:34], 4, v[140:141]
	v_lshlrev_b64 v[35:36], 4, v[138:139]
	v_add_nc_u32_e32 v192, 0x180, v0
	v_lshlrev_b64 v[118:119], 4, v[130:131]
	v_add_nc_u32_e32 v193, 0x200, v0
	v_mul_hi_u32 v195, 0x88888889, v191
	v_add_co_u32 v33, vcc_lo, s12, v33
	v_add_co_ci_u32_e32 v34, vcc_lo, s13, v34, vcc_lo
	v_add_co_u32 v37, vcc_lo, s12, v35
	v_add_co_ci_u32_e32 v38, vcc_lo, s13, v36, vcc_lo
	v_add_co_u32 v33, vcc_lo, 0x7000, v33
	v_lshlrev_b64 v[35:36], 4, v[136:137]
	v_add_co_ci_u32_e32 v34, vcc_lo, 0, v34, vcc_lo
	v_add_co_u32 v37, vcc_lo, 0x7000, v37
	v_mov_b32_e32 v136, v57
	v_add_co_ci_u32_e32 v38, vcc_lo, 0, v38, vcc_lo
	v_add_co_u32 v39, vcc_lo, s12, v35
	v_add_co_ci_u32_e32 v40, vcc_lo, s13, v36, vcc_lo
	v_lshlrev_b64 v[35:36], 4, v[135:136]
	v_add_co_u32 v39, vcc_lo, 0x7000, v39
	v_mov_b32_e32 v135, v57
	v_add_co_ci_u32_e32 v40, vcc_lo, 0, v40, vcc_lo
	v_add_co_u32 v41, vcc_lo, s12, v35
	v_add_co_ci_u32_e32 v42, vcc_lo, s13, v36, vcc_lo
	v_lshlrev_b64 v[35:36], 4, v[134:135]
	v_mov_b32_e32 v134, v57
	v_add_co_u32 v41, vcc_lo, 0x7000, v41
	v_add_co_ci_u32_e32 v42, vcc_lo, 0, v42, vcc_lo
	v_lshlrev_b64 v[43:44], 4, v[133:134]
	v_add_co_u32 v35, vcc_lo, s12, v35
	v_add_co_ci_u32_e32 v36, vcc_lo, s13, v36, vcc_lo
	v_mov_b32_e32 v133, v57
	v_add_co_u32 v43, vcc_lo, s12, v43
	v_add_co_ci_u32_e32 v44, vcc_lo, s13, v44, vcc_lo
	v_add_co_u32 v35, vcc_lo, 0x7000, v35
	v_add_co_ci_u32_e32 v36, vcc_lo, 0, v36, vcc_lo
	;; [unrolled: 2-line block ×8, first 2 shown]
	v_add_co_u32 v108, vcc_lo, 0x7000, v88
	v_lshlrev_b64 v[116:117], 4, v[132:133]
	v_add_co_ci_u32_e32 v109, vcc_lo, 0, v89, vcc_lo
	v_add_co_u32 v112, vcc_lo, 0x7000, v86
	v_add_co_ci_u32_e32 v113, vcc_lo, 0, v87, vcc_lo
	v_add_co_u32 v57, vcc_lo, s12, v116
	v_add_co_ci_u32_e32 v86, vcc_lo, s13, v117, vcc_lo
	s_clause 0xa
	global_load_dwordx4 v[53:56], v[33:34], off offset:1888
	global_load_dwordx4 v[49:52], v[37:38], off offset:1888
	;; [unrolled: 1-line block ×11, first 2 shown]
	v_add_co_u32 v91, vcc_lo, s12, v118
	v_add_co_ci_u32_e32 v118, vcc_lo, s13, v119, vcc_lo
	v_add_co_u32 v116, vcc_lo, 0x7000, v57
	v_add_co_ci_u32_e32 v117, vcc_lo, 0, v86, vcc_lo
	;; [unrolled: 2-line block ×3, first 2 shown]
	s_clause 0x3
	global_load_dwordx4 v[108:111], v[108:109], off offset:1888
	global_load_dwordx4 v[112:115], v[112:113], off offset:1888
	;; [unrolled: 1-line block ×4, first 2 shown]
	v_mul_i32_i24_e32 v57, 0xffffffb8, v126
	v_mul_i32_i24_e32 v86, 0xffffffb8, v128
	v_mul_lo_u32 v91, s5, v124
	v_mul_lo_u32 v128, s4, v125
	v_mad_u64_u32 v[120:121], null, s4, v124, 0
	ds_read2st64_b64 v[124:127], v155 offset0:56 offset1:58
	ds_read2st64_b64 v[133:136], v155 offset0:52 offset1:54
	ds_read_b64 v[165:166], v165
	ds_read_b64 v[167:168], v164
	;; [unrolled: 1-line block ×4, first 2 shown]
	ds_read2st64_b64 v[137:140], v155 offset0:48 offset1:50
	ds_read2st64_b64 v[141:144], v155 offset0:44 offset1:46
	ds_read_b64 v[173:174], v161
	ds_read_b64 v[175:176], v160
	;; [unrolled: 1-line block ×4, first 2 shown]
	ds_read2st64_b64 v[145:148], v155 offset0:40 offset1:42
	ds_read_b64 v[181:182], v159
	ds_read_b64 v[183:184], v158
	;; [unrolled: 1-line block ×4, first 2 shown]
	ds_read2st64_b64 v[149:152], v155 offset0:36 offset1:38
	ds_read2st64_b64 v[156:159], v155 offset0:32 offset1:34
	ds_read2st64_b64 v[160:163], v155 offset1:30
	v_mul_hi_u32 v155, 0x88888889, v0
	v_add_nc_u32_e32 v164, 0x80, v0
	v_add_nc_u32_e32 v230, 0x280, v0
	;; [unrolled: 1-line block ×3, first 2 shown]
	v_mul_hi_u32 v196, 0x88888889, v192
	v_add_nc_u32_e32 v57, v153, v57
	v_mul_hi_u32 v194, 0x88888889, v164
	v_mul_hi_u32 v197, 0x88888889, v193
	v_lshrrev_b32_e32 v155, 10, v155
	v_add3_u32 v121, v121, v128, v91
	v_mul_hi_u32 v91, 0x88888889, v230
	ds_read_b64 v[153:154], v86
	ds_read_b64 v[189:190], v57
	v_lshlrev_b64 v[122:123], 4, v[122:123]
	v_mul_u32_u24_e32 v57, 0x780, v155
	v_lshrrev_b32_e32 v128, 10, v194
	v_lshrrev_b32_e32 v155, 10, v195
	v_lshlrev_b64 v[120:121], 4, v[120:121]
	v_lshrrev_b32_e32 v194, 10, v196
	v_lshrrev_b32_e32 v195, 10, v197
	v_sub_nc_u32_e32 v199, v0, v57
	v_mul_u32_u24_e32 v57, 0x780, v128
	v_mul_u32_u24_e32 v86, 0x780, v155
	v_lshrrev_b32_e32 v231, 10, v91
	v_mul_u32_u24_e32 v91, 0x780, v194
	v_add_co_u32 v197, vcc_lo, s10, v120
	v_mul_u32_u24_e32 v196, 0x780, v195
	v_add_co_ci_u32_e32 v198, vcc_lo, s11, v121, vcc_lo
	v_mad_u64_u32 v[120:121], null, s2, v199, 0
	v_add_nc_u32_e32 v208, 0x780, v199
	v_sub_nc_u32_e32 v164, v164, v57
	v_sub_nc_u32_e32 v191, v191, v86
	;; [unrolled: 1-line block ×3, first 2 shown]
	v_add_co_u32 v57, vcc_lo, v197, v122
	v_sub_nc_u32_e32 v192, v193, v196
	v_add_co_ci_u32_e32 v86, vcc_lo, v198, v123, vcc_lo
	v_mad_u64_u32 v[122:123], null, s2, v208, 0
	v_mad_u32_u24 v164, 0xf00, v128, v164
	v_mad_u32_u24 v210, 0xf00, v155, v191
	;; [unrolled: 1-line block ×3, first 2 shown]
	v_mov_b32_e32 v91, v121
	v_mad_u32_u24 v212, 0xf00, v195, v192
	v_mad_u64_u32 v[191:192], null, s2, v164, 0
	v_add_nc_u32_e32 v213, 0x780, v164
	v_add_nc_u32_e32 v214, 0x780, v210
	v_mad_u64_u32 v[193:194], null, s2, v210, 0
	v_mad_u64_u32 v[195:196], null, s2, v211, 0
	;; [unrolled: 1-line block ×4, first 2 shown]
	v_add_nc_u32_e32 v215, 0x780, v211
	v_add_nc_u32_e32 v232, 0x780, v212
	v_mov_b32_e32 v128, v196
	v_mov_b32_e32 v155, v198
	v_mad_u64_u32 v[204:205], null, s2, v215, 0
	v_mad_u64_u32 v[206:207], null, s2, v232, 0
	s_waitcnt vmcnt(14)
	v_mul_f64 v[222:223], v[27:28], v[55:56]
	s_waitcnt lgkmcnt(21)
	v_mul_f64 v[55:56], v[126:127], v[55:56]
	s_waitcnt vmcnt(13)
	v_mul_f64 v[224:225], v[25:26], v[51:52]
	s_waitcnt vmcnt(8)
	v_mad_u64_u32 v[199:200], null, s3, v199, v[91:92]
	v_mov_b32_e32 v91, v123
	v_mad_u64_u32 v[200:201], null, s2, v213, 0
	v_mov_b32_e32 v123, v194
	s_waitcnt vmcnt(4)
	v_mul_f64 v[216:217], v[7:8], v[89:90]
	v_mad_u64_u32 v[208:209], null, s3, v208, v[91:92]
	v_mov_b32_e32 v91, v192
	v_mov_b32_e32 v121, v199
	v_mad_u64_u32 v[209:210], null, s3, v210, v[123:124]
	s_waitcnt lgkmcnt(3)
	v_mul_f64 v[89:90], v[158:159], v[89:90]
	v_mad_u64_u32 v[198:199], null, s3, v164, v[91:92]
	v_mov_b32_e32 v91, v201
	v_mov_b32_e32 v164, v203
	v_lshlrev_b64 v[120:121], 4, v[120:121]
	s_waitcnt vmcnt(0)
	v_mad_u64_u32 v[210:211], null, s3, v211, v[128:129]
	v_mad_u64_u32 v[211:212], null, s3, v212, v[155:156]
	v_mov_b32_e32 v123, v208
	v_mad_u64_u32 v[212:213], null, s3, v213, v[91:92]
	v_mad_u64_u32 v[213:214], null, s3, v214, v[164:165]
	v_mov_b32_e32 v192, v198
	v_lshlrev_b64 v[122:123], 4, v[122:123]
	v_mov_b32_e32 v194, v209
	v_mov_b32_e32 v196, v210
	v_add_co_u32 v198, vcc_lo, v57, v120
	v_add_co_ci_u32_e32 v199, vcc_lo, v86, v121, vcc_lo
	v_lshlrev_b64 v[120:121], 4, v[191:192]
	v_mov_b32_e32 v201, v212
	v_mov_b32_e32 v203, v213
	v_lshlrev_b64 v[191:192], 4, v[193:194]
	v_lshlrev_b64 v[193:194], 4, v[195:196]
	v_add_co_u32 v195, vcc_lo, v57, v122
	v_mov_b32_e32 v128, v205
	v_add_co_ci_u32_e32 v196, vcc_lo, v86, v123, vcc_lo
	v_lshlrev_b64 v[122:123], 4, v[200:201]
	v_lshlrev_b64 v[200:201], 4, v[202:203]
	v_add_co_u32 v202, vcc_lo, v57, v120
	v_add_co_ci_u32_e32 v203, vcc_lo, v86, v121, vcc_lo
	v_mad_u64_u32 v[214:215], null, s3, v215, v[128:129]
	v_add_co_u32 v191, vcc_lo, v57, v191
	v_add_co_ci_u32_e32 v192, vcc_lo, v86, v192, vcc_lo
	v_add_co_u32 v193, vcc_lo, v57, v193
	v_add_co_ci_u32_e32 v194, vcc_lo, v86, v194, vcc_lo
	v_add_co_u32 v208, vcc_lo, v57, v122
	v_mov_b32_e32 v205, v214
	v_add_co_ci_u32_e32 v209, vcc_lo, v86, v123, vcc_lo
	v_mul_f64 v[120:121], v[31:32], v[94:95]
	v_mul_f64 v[94:95], v[147:148], v[94:95]
	;; [unrolled: 1-line block ×10, first 2 shown]
	s_waitcnt lgkmcnt(2)
	v_mul_f64 v[114:115], v[162:163], v[114:115]
	v_mul_f64 v[110:111], v[156:157], v[110:111]
	v_fma_f64 v[7:8], v[7:8], v[87:88], v[89:90]
	v_mul_f64 v[51:52], v[124:125], v[51:52]
	v_mul_f64 v[226:227], v[23:24], v[47:48]
	;; [unrolled: 1-line block ×3, first 2 shown]
	v_fma_f64 v[27:28], v[27:28], v[53:54], v[55:56]
	v_fma_f64 v[55:56], v[49:50], v[124:125], -v[224:225]
	v_mul_f64 v[228:229], v[21:22], v[39:40]
	v_mul_f64 v[39:40], v[133:134], v[39:40]
	v_add_co_u32 v200, vcc_lo, v57, v200
	v_fma_f64 v[120:121], v[92:93], v[147:148], -v[120:121]
	v_fma_f64 v[31:32], v[31:32], v[92:93], v[94:95]
	v_fma_f64 v[93:94], v[96:97], v[145:146], -v[122:123]
	v_fma_f64 v[29:30], v[29:30], v[96:97], v[98:99]
	v_mul_f64 v[95:96], v[15:16], v[118:119]
	v_mul_f64 v[97:98], v[143:144], v[118:119]
	v_mul_f64 v[118:119], v[13:14], v[131:132]
	v_fma_f64 v[145:146], v[100:101], v[151:152], -v[212:213]
	v_fma_f64 v[11:12], v[11:12], v[100:101], v[102:103]
	v_mul_f64 v[99:100], v[141:142], v[131:132]
	v_fma_f64 v[101:102], v[104:105], v[149:150], -v[214:215]
	v_fma_f64 v[9:10], v[9:10], v[104:105], v[106:107]
	v_fma_f64 v[103:104], v[87:88], v[158:159], -v[216:217]
	v_fma_f64 v[87:88], v[108:109], v[156:157], -v[218:219]
	;; [unrolled: 1-line block ×3, first 2 shown]
	v_fma_f64 v[3:4], v[3:4], v[112:113], v[114:115]
	v_fma_f64 v[5:6], v[5:6], v[108:109], v[110:111]
	v_fma_f64 v[105:106], v[53:54], v[126:127], -v[222:223]
	v_mul_f64 v[91:92], v[19:20], v[35:36]
	v_mul_f64 v[35:36], v[139:140], v[35:36]
	;; [unrolled: 1-line block ×3, first 2 shown]
	v_fma_f64 v[25:26], v[25:26], v[49:50], v[51:52]
	v_mul_f64 v[43:44], v[137:138], v[43:44]
	v_fma_f64 v[23:24], v[23:24], v[45:46], v[47:48]
	v_add_f64 v[47:48], v[58:59], -v[7:8]
	v_fma_f64 v[107:108], v[45:46], v[135:136], -v[226:227]
	v_fma_f64 v[113:114], v[116:117], v[143:144], -v[95:96]
	v_fma_f64 v[15:16], v[15:16], v[116:117], v[97:98]
	v_fma_f64 v[115:116], v[129:130], v[141:142], -v[118:119]
	v_fma_f64 v[21:22], v[21:22], v[37:38], v[39:40]
	v_add_f64 v[31:32], v[84:85], -v[31:32]
	v_fma_f64 v[117:118], v[13:14], v[129:130], v[99:100]
	v_add_f64 v[45:46], v[183:184], -v[101:102]
	v_add_f64 v[39:40], v[82:83], -v[11:12]
	s_waitcnt lgkmcnt(1)
	v_add_f64 v[49:50], v[153:154], -v[103:104]
	s_waitcnt lgkmcnt(0)
	v_add_f64 v[53:54], v[189:190], -v[87:88]
	v_add_f64 v[89:90], v[160:161], -v[89:90]
	v_add_f64 v[87:88], v[1:2], -v[3:4]
	v_add_f64 v[51:52], v[60:61], -v[5:6]
	v_add_f64 v[5:6], v[165:166], -v[105:106]
	v_fma_f64 v[91:92], v[33:34], v[139:140], -v[91:92]
	v_fma_f64 v[19:20], v[19:20], v[33:34], v[35:36]
	v_fma_f64 v[111:112], v[41:42], v[137:138], -v[122:123]
	v_add_f64 v[33:34], v[179:180], -v[120:121]
	v_fma_f64 v[17:18], v[17:18], v[41:42], v[43:44]
	v_add_f64 v[35:36], v[62:63], -v[29:30]
	v_add_f64 v[43:44], v[76:77], -v[9:10]
	v_fma_f64 v[123:124], v[58:59], 2.0, -v[47:48]
	v_add_f64 v[41:42], v[181:182], -v[145:146]
	v_add_co_ci_u32_e32 v201, vcc_lo, v86, v201, vcc_lo
	v_add_f64 v[105:106], v[177:178], -v[115:116]
	v_add_f64 v[9:10], v[167:168], -v[55:56]
	;; [unrolled: 1-line block ×3, first 2 shown]
	v_add_nc_u32_e32 v56, 0x300, v0
	v_add_f64 v[13:14], v[169:170], -v[107:108]
	v_fma_f64 v[125:126], v[153:154], 2.0, -v[49:50]
	v_fma_f64 v[121:122], v[189:190], 2.0, -v[53:54]
	;; [unrolled: 1-line block ×5, first 2 shown]
	global_store_dwordx4 v[198:199], v[115:118], off
	global_store_dwordx4 v[195:196], v[87:90], off
	;; [unrolled: 1-line block ×6, first 2 shown]
	v_mul_u32_u24_e32 v48, 0x780, v231
	v_add_f64 v[97:98], v[173:174], -v[111:112]
	v_fma_f64 v[111:112], v[62:63], 2.0, -v[35:36]
	v_fma_f64 v[62:63], v[183:184], 2.0, -v[45:46]
	;; [unrolled: 1-line block ×3, first 2 shown]
	v_mov_b32_e32 v198, v211
	v_sub_nc_u32_e32 v48, v230, v48
	v_mov_b32_e32 v47, v207
	v_lshlrev_b64 v[1:2], 4, v[204:205]
	v_fma_f64 v[107:108], v[84:85], 2.0, -v[31:32]
	v_fma_f64 v[84:85], v[181:182], 2.0, -v[41:42]
	v_mad_u32_u24 v55, 0xf00, v231, v48
	v_lshlrev_b64 v[48:49], 4, v[197:198]
	v_fma_f64 v[82:83], v[82:83], 2.0, -v[39:40]
	v_mul_hi_u32 v59, 0x88888889, v56
	v_add_co_u32 v1, vcc_lo, v57, v1
	v_add_nc_u32_e32 v58, 0x780, v55
	v_mad_u64_u32 v[50:51], null, s3, v232, v[47:48]
	v_mad_u64_u32 v[51:52], null, s2, v55, 0
	v_add_co_ci_u32_e32 v2, vcc_lo, v86, v2, vcc_lo
	v_mad_u64_u32 v[53:54], null, s2, v58, 0
	v_add_co_u32 v47, vcc_lo, v57, v48
	v_add_co_ci_u32_e32 v48, vcc_lo, v86, v49, vcc_lo
	v_mov_b32_e32 v49, v52
	global_store_dwordx4 v[193:194], v[60:63], off
	global_store_dwordx4 v[1:2], v[43:46], off
	v_lshrrev_b32_e32 v45, 10, v59
	v_fma_f64 v[109:110], v[37:38], v[133:134], -v[228:229]
	v_add_f64 v[37:38], v[187:188], -v[93:94]
	v_mov_b32_e32 v207, v50
	v_mad_u64_u32 v[49:50], null, s3, v55, v[49:50]
	v_mov_b32_e32 v43, v54
	v_add_nc_u32_e32 v50, 0x380, v0
	v_mul_u32_u24_e32 v46, 0x780, v45
	global_store_dwordx4 v[47:48], v[82:85], off
	v_lshlrev_b64 v[1:2], 4, v[206:207]
	v_mad_u64_u32 v[43:44], null, s3, v58, v[43:44]
	v_mul_hi_u32 v47, 0x88888889, v50
	v_sub_nc_u32_e32 v44, v56, v46
	v_mov_b32_e32 v52, v49
	v_add_f64 v[101:102], v[175:176], -v[113:114]
	v_add_co_u32 v1, vcc_lo, v57, v1
	v_mad_u32_u24 v55, 0xf00, v45, v44
	v_lshlrev_b64 v[44:45], 4, v[51:52]
	v_lshrrev_b32_e32 v56, 10, v47
	v_add_co_ci_u32_e32 v2, vcc_lo, v86, v2, vcc_lo
	v_mad_u64_u32 v[46:47], null, s2, v55, 0
	v_fma_f64 v[113:114], v[187:188], 2.0, -v[37:38]
	v_mul_u32_u24_e32 v51, 0x780, v56
	v_add_nc_u32_e32 v58, 0x780, v55
	v_mov_b32_e32 v54, v43
	v_add_co_u32 v43, vcc_lo, v57, v44
	v_add_co_ci_u32_e32 v44, vcc_lo, v86, v45, vcc_lo
	v_mov_b32_e32 v45, v47
	v_sub_nc_u32_e32 v47, v50, v51
	v_mad_u64_u32 v[50:51], null, s2, v58, 0
	v_add_nc_u32_e32 v60, 0x400, v0
	v_lshlrev_b64 v[48:49], 4, v[53:54]
	v_mad_u32_u24 v59, 0xf00, v56, v47
	v_mad_u64_u32 v[52:53], null, s3, v55, v[45:46]
	v_add_f64 v[99:100], v[66:67], -v[15:16]
	v_mov_b32_e32 v45, v51
	v_mul_hi_u32 v51, 0x88888889, v60
	v_add_co_u32 v48, vcc_lo, v57, v48
	v_mad_u64_u32 v[53:54], null, s2, v59, 0
	v_add_co_ci_u32_e32 v49, vcc_lo, v86, v49, vcc_lo
	global_store_dwordx4 v[1:2], v[39:42], off
	global_store_dwordx4 v[43:44], v[111:114], off
	;; [unrolled: 1-line block ×3, first 2 shown]
	v_lshrrev_b32_e32 v40, 10, v51
	v_add_nc_u32_e32 v44, 0x780, v59
	v_mov_b32_e32 v35, v54
	v_mad_u64_u32 v[55:56], null, s3, v58, v[45:46]
	v_mul_u32_u24_e32 v38, 0x780, v40
	v_mov_b32_e32 v47, v52
	v_mad_u64_u32 v[35:36], null, s3, v59, v[35:36]
	v_mad_u64_u32 v[36:37], null, s2, v44, 0
	v_sub_nc_u32_e32 v41, v60, v38
	v_add_nc_u32_e32 v48, 0x480, v0
	v_add_f64 v[29:30], v[171:172], -v[109:110]
	v_fma_f64 v[109:110], v[179:180], 2.0, -v[33:34]
	v_mov_b32_e32 v51, v55
	v_lshlrev_b64 v[1:2], 4, v[46:47]
	v_mad_u32_u24 v47, 0xf00, v40, v41
	v_mov_b32_e32 v54, v35
	v_mov_b32_e32 v35, v37
	v_mul_hi_u32 v37, 0x88888889, v48
	v_fma_f64 v[127:128], v[66:67], 2.0, -v[99:100]
	v_fma_f64 v[66:67], v[177:178], 2.0, -v[105:106]
	;; [unrolled: 1-line block ×3, first 2 shown]
	v_lshlrev_b64 v[38:39], 4, v[50:51]
	v_mad_u64_u32 v[40:41], null, s2, v47, 0
	v_add_co_u32 v1, vcc_lo, v57, v1
	v_lshlrev_b64 v[42:43], 4, v[53:54]
	v_add_co_ci_u32_e32 v2, vcc_lo, v86, v2, vcc_lo
	v_add_co_u32 v38, vcc_lo, v57, v38
	v_lshrrev_b32_e32 v49, 10, v37
	v_add_co_ci_u32_e32 v39, vcc_lo, v86, v39, vcc_lo
	v_mad_u64_u32 v[44:45], null, s3, v44, v[35:36]
	v_mov_b32_e32 v35, v41
	v_add_co_u32 v41, vcc_lo, v57, v42
	v_add_co_ci_u32_e32 v42, vcc_lo, v86, v43, vcc_lo
	v_mul_u32_u24_e32 v43, 0x780, v49
	v_mov_b32_e32 v37, v44
	global_store_dwordx4 v[1:2], v[107:110], off
	global_store_dwordx4 v[38:39], v[31:34], off
	v_mad_u64_u32 v[45:46], null, s3, v47, v[35:36]
	v_sub_nc_u32_e32 v31, v48, v43
	v_add_nc_u32_e32 v43, 0x500, v0
	global_store_dwordx4 v[41:42], v[64:67], off
	v_lshlrev_b64 v[1:2], 4, v[36:37]
	v_add_nc_u32_e32 v37, 0x780, v47
	v_mad_u32_u24 v42, 0xf00, v49, v31
	v_fma_f64 v[129:130], v[175:176], 2.0, -v[101:102]
	v_mul_hi_u32 v38, 0x88888889, v43
	v_mov_b32_e32 v41, v45
	v_mad_u64_u32 v[31:32], null, s2, v37, 0
	v_mad_u64_u32 v[33:34], null, s2, v42, 0
	v_add_f64 v[93:94], v[185:186], -v[91:92]
	v_add_f64 v[91:92], v[70:71], -v[19:20]
	;; [unrolled: 1-line block ×3, first 2 shown]
	v_add_nc_u32_e32 v44, 0x780, v42
	v_lshlrev_b64 v[35:36], 4, v[40:41]
	v_lshrrev_b32_e32 v45, 10, v38
	v_add_co_u32 v1, vcc_lo, v57, v1
	v_mad_u64_u32 v[37:38], null, s3, v37, v[32:33]
	v_mad_u64_u32 v[38:39], null, s2, v44, 0
	v_add_co_ci_u32_e32 v2, vcc_lo, v86, v2, vcc_lo
	v_mul_u32_u24_e32 v46, 0x780, v45
	v_mov_b32_e32 v32, v34
	v_add_co_u32 v34, vcc_lo, v57, v35
	v_add_co_ci_u32_e32 v35, vcc_lo, v86, v36, vcc_lo
	v_sub_nc_u32_e32 v36, v43, v46
	global_store_dwordx4 v[1:2], v[103:106], off
	global_store_dwordx4 v[34:35], v[127:130], off
	v_mov_b32_e32 v1, v39
	v_mad_u64_u32 v[40:41], null, s3, v42, v[32:33]
	v_mad_u32_u24 v42, 0xf00, v45, v36
	v_add_nc_u32_e32 v43, 0x580, v0
	v_add_f64 v[3:4], v[80:81], -v[27:28]
	v_mad_u64_u32 v[1:2], null, s3, v44, v[1:2]
	v_mov_b32_e32 v32, v37
	v_fma_f64 v[76:77], v[70:71], 2.0, -v[91:92]
	v_fma_f64 v[70:71], v[173:174], 2.0, -v[97:98]
	;; [unrolled: 1-line block ×3, first 2 shown]
	v_mad_u64_u32 v[35:36], null, s2, v42, 0
	v_add_nc_u32_e32 v44, 0x780, v42
	v_mul_hi_u32 v2, 0x88888889, v43
	v_mov_b32_e32 v34, v40
	v_lshlrev_b64 v[31:32], 4, v[31:32]
	v_mov_b32_e32 v39, v1
	v_mad_u64_u32 v[40:41], null, s2, v44, 0
	v_lshlrev_b64 v[33:34], 4, v[33:34]
	v_mov_b32_e32 v1, v36
	v_lshrrev_b32_e32 v45, 10, v2
	v_add_co_u32 v31, vcc_lo, v57, v31
	v_lshlrev_b64 v[36:37], 4, v[38:39]
	v_add_f64 v[7:8], v[78:79], -v[25:26]
	v_add_co_ci_u32_e32 v32, vcc_lo, v86, v32, vcc_lo
	v_add_co_u32 v33, vcc_lo, v57, v33
	v_mad_u64_u32 v[1:2], null, s3, v42, v[1:2]
	v_mov_b32_e32 v2, v41
	v_mul_u32_u24_e32 v46, 0x780, v45
	v_add_co_ci_u32_e32 v34, vcc_lo, v86, v34, vcc_lo
	v_add_co_u32 v38, vcc_lo, v57, v36
	v_add_co_ci_u32_e32 v39, vcc_lo, v86, v37, vcc_lo
	v_mad_u64_u32 v[41:42], null, s3, v44, v[2:3]
	v_sub_nc_u32_e32 v2, v43, v46
	global_store_dwordx4 v[31:32], v[99:102], off
	v_mov_b32_e32 v36, v1
	global_store_dwordx4 v[33:34], v[68:71], off
	global_store_dwordx4 v[38:39], v[95:98], off
	v_add_nc_u32_e32 v39, 0x600, v0
	v_mad_u32_u24 v37, 0xf00, v45, v2
	v_lshlrev_b64 v[33:34], 4, v[40:41]
	v_lshlrev_b64 v[1:2], 4, v[35:36]
	v_add_f64 v[11:12], v[74:75], -v[23:24]
	v_mul_hi_u32 v35, 0x88888889, v39
	v_mad_u64_u32 v[31:32], null, s2, v37, 0
	v_add_f64 v[27:28], v[72:73], -v[21:22]
	v_add_nc_u32_e32 v42, 0x780, v37
	v_fma_f64 v[19:20], v[78:79], 2.0, -v[7:8]
	v_fma_f64 v[78:79], v[185:186], 2.0, -v[93:94]
	v_add_co_u32 v1, vcc_lo, v57, v1
	v_lshrrev_b32_e32 v40, 10, v35
	v_mad_u64_u32 v[35:36], null, s2, v42, 0
	v_mad_u64_u32 v[37:38], null, s3, v37, v[32:33]
	v_mul_u32_u24_e32 v32, 0x780, v40
	v_add_nc_u32_e32 v38, 0x680, v0
	v_add_co_ci_u32_e32 v2, vcc_lo, v86, v2, vcc_lo
	v_add_co_u32 v33, vcc_lo, v57, v33
	v_sub_nc_u32_e32 v39, v39, v32
	v_mov_b32_e32 v32, v37
	v_mad_u64_u32 v[36:37], null, s3, v42, v[36:37]
	v_mul_hi_u32 v37, 0x88888889, v38
	v_mad_u32_u24 v39, 0xf00, v40, v39
	v_add_co_ci_u32_e32 v34, vcc_lo, v86, v34, vcc_lo
	v_fma_f64 v[23:24], v[74:75], 2.0, -v[11:12]
	v_fma_f64 v[74:75], v[171:172], 2.0, -v[29:30]
	;; [unrolled: 1-line block ×3, first 2 shown]
	global_store_dwordx4 v[1:2], v[76:79], off
	global_store_dwordx4 v[33:34], v[91:94], off
	v_lshrrev_b32_e32 v40, 10, v37
	v_lshlrev_b64 v[1:2], 4, v[31:32]
	v_mad_u64_u32 v[31:32], null, s2, v39, 0
	v_lshlrev_b64 v[33:34], 4, v[35:36]
	v_mul_u32_u24_e32 v42, 0x780, v40
	v_add_nc_u32_e32 v43, 0x700, v0
	v_add_nc_u32_e32 v41, 0x780, v39
	v_add_co_u32 v1, vcc_lo, v57, v1
	v_mad_u64_u32 v[35:36], null, s3, v39, v[32:33]
	v_sub_nc_u32_e32 v0, v38, v42
	v_mul_hi_u32 v38, 0x88888889, v43
	v_mad_u64_u32 v[36:37], null, s2, v41, 0
	v_add_co_ci_u32_e32 v2, vcc_lo, v86, v2, vcc_lo
	v_mov_b32_e32 v32, v35
	v_mad_u32_u24 v35, 0xf00, v40, v0
	v_add_co_u32 v33, vcc_lo, v57, v33
	v_lshrrev_b32_e32 v38, 10, v38
	v_add_co_ci_u32_e32 v34, vcc_lo, v86, v34, vcc_lo
	global_store_dwordx4 v[1:2], v[72:75], off
	v_mov_b32_e32 v2, v37
	v_add_nc_u32_e32 v37, 0x780, v35
	v_fma_f64 v[25:26], v[169:170], 2.0, -v[13:14]
	v_lshlrev_b64 v[0:1], 4, v[31:32]
	v_mul_u32_u24_e32 v31, 0x780, v38
	global_store_dwordx4 v[33:34], v[27:30], off
	v_mad_u64_u32 v[29:30], null, s2, v37, 0
	v_mad_u64_u32 v[27:28], null, s2, v35, 0
	v_sub_nc_u32_e32 v33, v43, v31
	v_mad_u64_u32 v[31:32], null, s3, v41, v[2:3]
	v_add_co_u32 v0, vcc_lo, v57, v0
	v_mad_u32_u24 v41, 0xf00, v38, v33
	v_mov_b32_e32 v2, v30
	v_mad_u64_u32 v[32:33], null, s3, v35, v[28:29]
	v_add_co_ci_u32_e32 v1, vcc_lo, v86, v1, vcc_lo
	v_mad_u64_u32 v[33:34], null, s2, v41, 0
	v_add_nc_u32_e32 v35, 0x780, v41
	v_mad_u64_u32 v[38:39], null, s3, v37, v[2:3]
	v_mov_b32_e32 v37, v31
	global_store_dwordx4 v[0:1], v[23:26], off
	v_mad_u64_u32 v[39:40], null, s2, v35, 0
	v_mov_b32_e32 v0, v34
	v_lshlrev_b64 v[1:2], 4, v[36:37]
	v_mov_b32_e32 v28, v32
	v_mov_b32_e32 v30, v38
	v_fma_f64 v[21:22], v[167:168], 2.0, -v[9:10]
	v_fma_f64 v[17:18], v[165:166], 2.0, -v[5:6]
	;; [unrolled: 1-line block ×3, first 2 shown]
	v_mad_u64_u32 v[23:24], null, s3, v41, v[0:1]
	v_mov_b32_e32 v0, v40
	v_add_co_u32 v1, vcc_lo, v57, v1
	v_lshlrev_b64 v[24:25], 4, v[27:28]
	v_add_co_ci_u32_e32 v2, vcc_lo, v86, v2, vcc_lo
	v_mad_u64_u32 v[26:27], null, s3, v35, v[0:1]
	v_lshlrev_b64 v[27:28], 4, v[29:30]
	v_mov_b32_e32 v34, v23
	v_add_co_u32 v23, vcc_lo, v57, v24
	v_add_co_ci_u32_e32 v24, vcc_lo, v86, v25, vcc_lo
	v_mov_b32_e32 v40, v26
	v_lshlrev_b64 v[29:30], 4, v[33:34]
	v_add_co_u32 v25, vcc_lo, v57, v27
	v_add_co_ci_u32_e32 v26, vcc_lo, v86, v28, vcc_lo
	v_lshlrev_b64 v[27:28], 4, v[39:40]
	v_add_co_u32 v29, vcc_lo, v57, v29
	v_add_co_ci_u32_e32 v30, vcc_lo, v86, v30, vcc_lo
	v_add_co_u32 v27, vcc_lo, v57, v27
	v_add_co_ci_u32_e32 v28, vcc_lo, v86, v28, vcc_lo
	global_store_dwordx4 v[1:2], v[11:14], off
	global_store_dwordx4 v[23:24], v[19:22], off
	;; [unrolled: 1-line block ×5, first 2 shown]
.LBB0_15:
	s_endpgm
	.section	.rodata,"a",@progbits
	.p2align	6, 0x0
	.amdhsa_kernel fft_rtc_back_len3840_factors_10_6_2_2_2_2_2_2_wgs_128_tpt_128_halfLds_dp_op_CI_CI_sbrr_dirReg
		.amdhsa_group_segment_fixed_size 0
		.amdhsa_private_segment_fixed_size 0
		.amdhsa_kernarg_size 104
		.amdhsa_user_sgpr_count 6
		.amdhsa_user_sgpr_private_segment_buffer 1
		.amdhsa_user_sgpr_dispatch_ptr 0
		.amdhsa_user_sgpr_queue_ptr 0
		.amdhsa_user_sgpr_kernarg_segment_ptr 1
		.amdhsa_user_sgpr_dispatch_id 0
		.amdhsa_user_sgpr_flat_scratch_init 0
		.amdhsa_user_sgpr_private_segment_size 0
		.amdhsa_wavefront_size32 1
		.amdhsa_uses_dynamic_stack 0
		.amdhsa_system_sgpr_private_segment_wavefront_offset 0
		.amdhsa_system_sgpr_workgroup_id_x 1
		.amdhsa_system_sgpr_workgroup_id_y 0
		.amdhsa_system_sgpr_workgroup_id_z 0
		.amdhsa_system_sgpr_workgroup_info 0
		.amdhsa_system_vgpr_workitem_id 0
		.amdhsa_next_free_vgpr 242
		.amdhsa_next_free_sgpr 31
		.amdhsa_reserve_vcc 1
		.amdhsa_reserve_flat_scratch 0
		.amdhsa_float_round_mode_32 0
		.amdhsa_float_round_mode_16_64 0
		.amdhsa_float_denorm_mode_32 3
		.amdhsa_float_denorm_mode_16_64 3
		.amdhsa_dx10_clamp 1
		.amdhsa_ieee_mode 1
		.amdhsa_fp16_overflow 0
		.amdhsa_workgroup_processor_mode 1
		.amdhsa_memory_ordered 1
		.amdhsa_forward_progress 0
		.amdhsa_shared_vgpr_count 0
		.amdhsa_exception_fp_ieee_invalid_op 0
		.amdhsa_exception_fp_denorm_src 0
		.amdhsa_exception_fp_ieee_div_zero 0
		.amdhsa_exception_fp_ieee_overflow 0
		.amdhsa_exception_fp_ieee_underflow 0
		.amdhsa_exception_fp_ieee_inexact 0
		.amdhsa_exception_int_div_zero 0
	.end_amdhsa_kernel
	.text
.Lfunc_end0:
	.size	fft_rtc_back_len3840_factors_10_6_2_2_2_2_2_2_wgs_128_tpt_128_halfLds_dp_op_CI_CI_sbrr_dirReg, .Lfunc_end0-fft_rtc_back_len3840_factors_10_6_2_2_2_2_2_2_wgs_128_tpt_128_halfLds_dp_op_CI_CI_sbrr_dirReg
                                        ; -- End function
	.section	.AMDGPU.csdata,"",@progbits
; Kernel info:
; codeLenInByte = 29928
; NumSgprs: 33
; NumVgprs: 242
; ScratchSize: 0
; MemoryBound: 1
; FloatMode: 240
; IeeeMode: 1
; LDSByteSize: 0 bytes/workgroup (compile time only)
; SGPRBlocks: 4
; VGPRBlocks: 30
; NumSGPRsForWavesPerEU: 33
; NumVGPRsForWavesPerEU: 242
; Occupancy: 4
; WaveLimiterHint : 1
; COMPUTE_PGM_RSRC2:SCRATCH_EN: 0
; COMPUTE_PGM_RSRC2:USER_SGPR: 6
; COMPUTE_PGM_RSRC2:TRAP_HANDLER: 0
; COMPUTE_PGM_RSRC2:TGID_X_EN: 1
; COMPUTE_PGM_RSRC2:TGID_Y_EN: 0
; COMPUTE_PGM_RSRC2:TGID_Z_EN: 0
; COMPUTE_PGM_RSRC2:TIDIG_COMP_CNT: 0
	.text
	.p2alignl 6, 3214868480
	.fill 48, 4, 3214868480
	.type	__hip_cuid_47342e9bfbc5e0bc,@object ; @__hip_cuid_47342e9bfbc5e0bc
	.section	.bss,"aw",@nobits
	.globl	__hip_cuid_47342e9bfbc5e0bc
__hip_cuid_47342e9bfbc5e0bc:
	.byte	0                               ; 0x0
	.size	__hip_cuid_47342e9bfbc5e0bc, 1

	.ident	"AMD clang version 19.0.0git (https://github.com/RadeonOpenCompute/llvm-project roc-6.4.0 25133 c7fe45cf4b819c5991fe208aaa96edf142730f1d)"
	.section	".note.GNU-stack","",@progbits
	.addrsig
	.addrsig_sym __hip_cuid_47342e9bfbc5e0bc
	.amdgpu_metadata
---
amdhsa.kernels:
  - .args:
      - .actual_access:  read_only
        .address_space:  global
        .offset:         0
        .size:           8
        .value_kind:     global_buffer
      - .offset:         8
        .size:           8
        .value_kind:     by_value
      - .actual_access:  read_only
        .address_space:  global
        .offset:         16
        .size:           8
        .value_kind:     global_buffer
      - .actual_access:  read_only
        .address_space:  global
        .offset:         24
        .size:           8
        .value_kind:     global_buffer
      - .actual_access:  read_only
        .address_space:  global
        .offset:         32
        .size:           8
        .value_kind:     global_buffer
      - .offset:         40
        .size:           8
        .value_kind:     by_value
      - .actual_access:  read_only
        .address_space:  global
        .offset:         48
        .size:           8
        .value_kind:     global_buffer
      - .actual_access:  read_only
        .address_space:  global
        .offset:         56
        .size:           8
        .value_kind:     global_buffer
      - .offset:         64
        .size:           4
        .value_kind:     by_value
      - .actual_access:  read_only
        .address_space:  global
        .offset:         72
        .size:           8
        .value_kind:     global_buffer
      - .actual_access:  read_only
        .address_space:  global
        .offset:         80
        .size:           8
        .value_kind:     global_buffer
      - .actual_access:  read_only
        .address_space:  global
        .offset:         88
        .size:           8
        .value_kind:     global_buffer
      - .actual_access:  write_only
        .address_space:  global
        .offset:         96
        .size:           8
        .value_kind:     global_buffer
    .group_segment_fixed_size: 0
    .kernarg_segment_align: 8
    .kernarg_segment_size: 104
    .language:       OpenCL C
    .language_version:
      - 2
      - 0
    .max_flat_workgroup_size: 128
    .name:           fft_rtc_back_len3840_factors_10_6_2_2_2_2_2_2_wgs_128_tpt_128_halfLds_dp_op_CI_CI_sbrr_dirReg
    .private_segment_fixed_size: 0
    .sgpr_count:     33
    .sgpr_spill_count: 0
    .symbol:         fft_rtc_back_len3840_factors_10_6_2_2_2_2_2_2_wgs_128_tpt_128_halfLds_dp_op_CI_CI_sbrr_dirReg.kd
    .uniform_work_group_size: 1
    .uses_dynamic_stack: false
    .vgpr_count:     242
    .vgpr_spill_count: 0
    .wavefront_size: 32
    .workgroup_processor_mode: 1
amdhsa.target:   amdgcn-amd-amdhsa--gfx1030
amdhsa.version:
  - 1
  - 2
...

	.end_amdgpu_metadata
